;; amdgpu-corpus repo=ROCm/rocFFT kind=compiled arch=gfx1201 opt=O3
	.text
	.amdgcn_target "amdgcn-amd-amdhsa--gfx1201"
	.amdhsa_code_object_version 6
	.protected	fft_rtc_back_len1190_factors_17_2_5_7_wgs_255_tpt_85_halfLds_half_op_CI_CI_unitstride_sbrr_C2R_dirReg ; -- Begin function fft_rtc_back_len1190_factors_17_2_5_7_wgs_255_tpt_85_halfLds_half_op_CI_CI_unitstride_sbrr_C2R_dirReg
	.globl	fft_rtc_back_len1190_factors_17_2_5_7_wgs_255_tpt_85_halfLds_half_op_CI_CI_unitstride_sbrr_C2R_dirReg
	.p2align	8
	.type	fft_rtc_back_len1190_factors_17_2_5_7_wgs_255_tpt_85_halfLds_half_op_CI_CI_unitstride_sbrr_C2R_dirReg,@function
fft_rtc_back_len1190_factors_17_2_5_7_wgs_255_tpt_85_halfLds_half_op_CI_CI_unitstride_sbrr_C2R_dirReg: ; @fft_rtc_back_len1190_factors_17_2_5_7_wgs_255_tpt_85_halfLds_half_op_CI_CI_unitstride_sbrr_C2R_dirReg
; %bb.0:
	s_load_b128 s[8:11], s[0:1], 0x0
	v_mul_u32_u24_e32 v1, 0x304, v0
	s_clause 0x1
	s_load_b128 s[4:7], s[0:1], 0x58
	s_load_b128 s[12:15], s[0:1], 0x18
	v_mov_b32_e32 v9, 0
	v_mov_b32_e32 v7, 0
	;; [unrolled: 1-line block ×3, first 2 shown]
	v_lshrrev_b32_e32 v1, 16, v1
	s_delay_alu instid0(VALU_DEP_1) | instskip(NEXT) | instid1(VALU_DEP_4)
	v_mad_co_u64_u32 v[3:4], null, ttmp9, 3, v[1:2]
	v_dual_mov_b32 v4, v9 :: v_dual_mov_b32 v1, v7
	s_delay_alu instid0(VALU_DEP_4) | instskip(NEXT) | instid1(VALU_DEP_2)
	v_mov_b32_e32 v2, v8
	v_dual_mov_b32 v6, v4 :: v_dual_mov_b32 v5, v3
	s_wait_kmcnt 0x0
	v_cmp_lt_u64_e64 s2, s[10:11], 2
	s_delay_alu instid0(VALU_DEP_1)
	s_and_b32 vcc_lo, exec_lo, s2
	s_cbranch_vccnz .LBB0_8
; %bb.1:
	s_load_b64 s[2:3], s[0:1], 0x10
	v_dual_mov_b32 v7, 0 :: v_dual_mov_b32 v12, v4
	v_dual_mov_b32 v8, 0 :: v_dual_mov_b32 v11, v3
	s_delay_alu instid0(VALU_DEP_2) | instskip(SKIP_2) | instid1(VALU_DEP_2)
	v_mov_b32_e32 v1, v7
	s_add_nc_u64 s[16:17], s[14:15], 8
	s_add_nc_u64 s[18:19], s[12:13], 8
	v_mov_b32_e32 v2, v8
	s_mov_b64 s[20:21], 1
	s_wait_kmcnt 0x0
	s_add_nc_u64 s[22:23], s[2:3], 8
	s_mov_b32 s3, 0
.LBB0_2:                                ; =>This Inner Loop Header: Depth=1
	s_load_b64 s[24:25], s[22:23], 0x0
                                        ; implicit-def: $vgpr5_vgpr6
	s_mov_b32 s2, exec_lo
	s_wait_kmcnt 0x0
	v_or_b32_e32 v10, s25, v12
	s_delay_alu instid0(VALU_DEP_1)
	v_cmpx_ne_u64_e32 0, v[9:10]
	s_wait_alu 0xfffe
	s_xor_b32 s26, exec_lo, s2
	s_cbranch_execz .LBB0_4
; %bb.3:                                ;   in Loop: Header=BB0_2 Depth=1
	s_cvt_f32_u32 s2, s24
	s_cvt_f32_u32 s27, s25
	s_sub_nc_u64 s[30:31], 0, s[24:25]
	s_wait_alu 0xfffe
	s_delay_alu instid0(SALU_CYCLE_1) | instskip(SKIP_1) | instid1(SALU_CYCLE_2)
	s_fmamk_f32 s2, s27, 0x4f800000, s2
	s_wait_alu 0xfffe
	v_s_rcp_f32 s2, s2
	s_delay_alu instid0(TRANS32_DEP_1) | instskip(SKIP_1) | instid1(SALU_CYCLE_2)
	s_mul_f32 s2, s2, 0x5f7ffffc
	s_wait_alu 0xfffe
	s_mul_f32 s27, s2, 0x2f800000
	s_wait_alu 0xfffe
	s_delay_alu instid0(SALU_CYCLE_2) | instskip(SKIP_1) | instid1(SALU_CYCLE_2)
	s_trunc_f32 s27, s27
	s_wait_alu 0xfffe
	s_fmamk_f32 s2, s27, 0xcf800000, s2
	s_cvt_u32_f32 s29, s27
	s_wait_alu 0xfffe
	s_delay_alu instid0(SALU_CYCLE_1) | instskip(SKIP_1) | instid1(SALU_CYCLE_2)
	s_cvt_u32_f32 s28, s2
	s_wait_alu 0xfffe
	s_mul_u64 s[34:35], s[30:31], s[28:29]
	s_wait_alu 0xfffe
	s_mul_hi_u32 s37, s28, s35
	s_mul_i32 s36, s28, s35
	s_mul_hi_u32 s2, s28, s34
	s_mul_i32 s33, s29, s34
	s_wait_alu 0xfffe
	s_add_nc_u64 s[36:37], s[2:3], s[36:37]
	s_mul_hi_u32 s27, s29, s34
	s_mul_hi_u32 s38, s29, s35
	s_add_co_u32 s2, s36, s33
	s_wait_alu 0xfffe
	s_add_co_ci_u32 s2, s37, s27
	s_mul_i32 s34, s29, s35
	s_add_co_ci_u32 s35, s38, 0
	s_wait_alu 0xfffe
	s_add_nc_u64 s[34:35], s[2:3], s[34:35]
	s_wait_alu 0xfffe
	v_add_co_u32 v4, s2, s28, s34
	s_delay_alu instid0(VALU_DEP_1) | instskip(SKIP_1) | instid1(VALU_DEP_1)
	s_cmp_lg_u32 s2, 0
	s_add_co_ci_u32 s29, s29, s35
	v_readfirstlane_b32 s28, v4
	s_wait_alu 0xfffe
	s_delay_alu instid0(VALU_DEP_1)
	s_mul_u64 s[30:31], s[30:31], s[28:29]
	s_wait_alu 0xfffe
	s_mul_hi_u32 s35, s28, s31
	s_mul_i32 s34, s28, s31
	s_mul_hi_u32 s2, s28, s30
	s_mul_i32 s33, s29, s30
	s_wait_alu 0xfffe
	s_add_nc_u64 s[34:35], s[2:3], s[34:35]
	s_mul_hi_u32 s27, s29, s30
	s_mul_hi_u32 s28, s29, s31
	s_wait_alu 0xfffe
	s_add_co_u32 s2, s34, s33
	s_add_co_ci_u32 s2, s35, s27
	s_mul_i32 s30, s29, s31
	s_add_co_ci_u32 s31, s28, 0
	s_wait_alu 0xfffe
	s_add_nc_u64 s[30:31], s[2:3], s[30:31]
	s_wait_alu 0xfffe
	v_add_co_u32 v6, s2, v4, s30
	s_delay_alu instid0(VALU_DEP_1) | instskip(SKIP_1) | instid1(VALU_DEP_1)
	s_cmp_lg_u32 s2, 0
	s_add_co_ci_u32 s2, s29, s31
	v_mul_hi_u32 v10, v11, v6
	s_wait_alu 0xfffe
	v_mad_co_u64_u32 v[4:5], null, v11, s2, 0
	v_mad_co_u64_u32 v[13:14], null, v12, v6, 0
	;; [unrolled: 1-line block ×3, first 2 shown]
	s_delay_alu instid0(VALU_DEP_3) | instskip(SKIP_1) | instid1(VALU_DEP_4)
	v_add_co_u32 v4, vcc_lo, v10, v4
	s_wait_alu 0xfffd
	v_add_co_ci_u32_e32 v5, vcc_lo, 0, v5, vcc_lo
	s_delay_alu instid0(VALU_DEP_2) | instskip(SKIP_1) | instid1(VALU_DEP_2)
	v_add_co_u32 v4, vcc_lo, v4, v13
	s_wait_alu 0xfffd
	v_add_co_ci_u32_e32 v4, vcc_lo, v5, v14, vcc_lo
	s_wait_alu 0xfffd
	v_add_co_ci_u32_e32 v5, vcc_lo, 0, v16, vcc_lo
	s_delay_alu instid0(VALU_DEP_2) | instskip(SKIP_1) | instid1(VALU_DEP_2)
	v_add_co_u32 v10, vcc_lo, v4, v15
	s_wait_alu 0xfffd
	v_add_co_ci_u32_e32 v6, vcc_lo, 0, v5, vcc_lo
	s_delay_alu instid0(VALU_DEP_2) | instskip(SKIP_1) | instid1(VALU_DEP_3)
	v_mul_lo_u32 v13, s25, v10
	v_mad_co_u64_u32 v[4:5], null, s24, v10, 0
	v_mul_lo_u32 v14, s24, v6
	s_delay_alu instid0(VALU_DEP_2) | instskip(NEXT) | instid1(VALU_DEP_2)
	v_sub_co_u32 v4, vcc_lo, v11, v4
	v_add3_u32 v5, v5, v14, v13
	s_delay_alu instid0(VALU_DEP_1) | instskip(SKIP_1) | instid1(VALU_DEP_1)
	v_sub_nc_u32_e32 v13, v12, v5
	s_wait_alu 0xfffd
	v_subrev_co_ci_u32_e64 v13, s2, s25, v13, vcc_lo
	v_add_co_u32 v14, s2, v10, 2
	s_wait_alu 0xf1ff
	v_add_co_ci_u32_e64 v15, s2, 0, v6, s2
	v_sub_co_u32 v16, s2, v4, s24
	v_sub_co_ci_u32_e32 v5, vcc_lo, v12, v5, vcc_lo
	s_wait_alu 0xf1ff
	v_subrev_co_ci_u32_e64 v13, s2, 0, v13, s2
	s_delay_alu instid0(VALU_DEP_3) | instskip(NEXT) | instid1(VALU_DEP_3)
	v_cmp_le_u32_e32 vcc_lo, s24, v16
	v_cmp_eq_u32_e64 s2, s25, v5
	s_wait_alu 0xfffd
	v_cndmask_b32_e64 v16, 0, -1, vcc_lo
	v_cmp_le_u32_e32 vcc_lo, s25, v13
	s_wait_alu 0xfffd
	v_cndmask_b32_e64 v17, 0, -1, vcc_lo
	v_cmp_le_u32_e32 vcc_lo, s24, v4
	;; [unrolled: 3-line block ×3, first 2 shown]
	s_wait_alu 0xfffd
	v_cndmask_b32_e64 v18, 0, -1, vcc_lo
	v_cmp_eq_u32_e32 vcc_lo, s25, v13
	s_wait_alu 0xf1ff
	s_delay_alu instid0(VALU_DEP_2)
	v_cndmask_b32_e64 v4, v18, v4, s2
	s_wait_alu 0xfffd
	v_cndmask_b32_e32 v13, v17, v16, vcc_lo
	v_add_co_u32 v16, vcc_lo, v10, 1
	s_wait_alu 0xfffd
	v_add_co_ci_u32_e32 v17, vcc_lo, 0, v6, vcc_lo
	s_delay_alu instid0(VALU_DEP_3) | instskip(SKIP_1) | instid1(VALU_DEP_2)
	v_cmp_ne_u32_e32 vcc_lo, 0, v13
	s_wait_alu 0xfffd
	v_cndmask_b32_e32 v5, v17, v15, vcc_lo
	v_cndmask_b32_e32 v13, v16, v14, vcc_lo
	v_cmp_ne_u32_e32 vcc_lo, 0, v4
	s_wait_alu 0xfffd
	s_delay_alu instid0(VALU_DEP_3) | instskip(NEXT) | instid1(VALU_DEP_3)
	v_cndmask_b32_e32 v6, v6, v5, vcc_lo
	v_cndmask_b32_e32 v5, v10, v13, vcc_lo
.LBB0_4:                                ;   in Loop: Header=BB0_2 Depth=1
	s_wait_alu 0xfffe
	s_and_not1_saveexec_b32 s2, s26
	s_cbranch_execz .LBB0_6
; %bb.5:                                ;   in Loop: Header=BB0_2 Depth=1
	v_cvt_f32_u32_e32 v4, s24
	s_sub_co_i32 s26, 0, s24
	s_delay_alu instid0(VALU_DEP_1) | instskip(NEXT) | instid1(TRANS32_DEP_1)
	v_rcp_iflag_f32_e32 v4, v4
	v_mul_f32_e32 v4, 0x4f7ffffe, v4
	s_delay_alu instid0(VALU_DEP_1) | instskip(SKIP_1) | instid1(VALU_DEP_1)
	v_cvt_u32_f32_e32 v4, v4
	s_wait_alu 0xfffe
	v_mul_lo_u32 v5, s26, v4
	s_delay_alu instid0(VALU_DEP_1) | instskip(NEXT) | instid1(VALU_DEP_1)
	v_mul_hi_u32 v5, v4, v5
	v_add_nc_u32_e32 v4, v4, v5
	s_delay_alu instid0(VALU_DEP_1) | instskip(NEXT) | instid1(VALU_DEP_1)
	v_mul_hi_u32 v4, v11, v4
	v_mul_lo_u32 v5, v4, s24
	v_add_nc_u32_e32 v6, 1, v4
	s_delay_alu instid0(VALU_DEP_2) | instskip(NEXT) | instid1(VALU_DEP_1)
	v_sub_nc_u32_e32 v5, v11, v5
	v_subrev_nc_u32_e32 v10, s24, v5
	v_cmp_le_u32_e32 vcc_lo, s24, v5
	s_wait_alu 0xfffd
	s_delay_alu instid0(VALU_DEP_2) | instskip(SKIP_1) | instid1(VALU_DEP_2)
	v_cndmask_b32_e32 v5, v5, v10, vcc_lo
	v_cndmask_b32_e32 v4, v4, v6, vcc_lo
	v_cmp_le_u32_e32 vcc_lo, s24, v5
	s_delay_alu instid0(VALU_DEP_2) | instskip(SKIP_1) | instid1(VALU_DEP_1)
	v_add_nc_u32_e32 v6, 1, v4
	s_wait_alu 0xfffd
	v_dual_cndmask_b32 v5, v4, v6 :: v_dual_mov_b32 v6, v9
.LBB0_6:                                ;   in Loop: Header=BB0_2 Depth=1
	s_wait_alu 0xfffe
	s_or_b32 exec_lo, exec_lo, s2
	s_delay_alu instid0(VALU_DEP_1) | instskip(NEXT) | instid1(VALU_DEP_2)
	v_mul_lo_u32 v4, v6, s24
	v_mul_lo_u32 v10, v5, s25
	s_load_b64 s[26:27], s[18:19], 0x0
	v_mad_co_u64_u32 v[13:14], null, v5, s24, 0
	s_load_b64 s[24:25], s[16:17], 0x0
	s_add_nc_u64 s[20:21], s[20:21], 1
	s_add_nc_u64 s[16:17], s[16:17], 8
	s_wait_alu 0xfffe
	v_cmp_ge_u64_e64 s2, s[20:21], s[10:11]
	s_add_nc_u64 s[18:19], s[18:19], 8
	s_add_nc_u64 s[22:23], s[22:23], 8
	v_add3_u32 v4, v14, v10, v4
	v_sub_co_u32 v10, vcc_lo, v11, v13
	s_wait_alu 0xfffd
	s_delay_alu instid0(VALU_DEP_2) | instskip(SKIP_2) | instid1(VALU_DEP_1)
	v_sub_co_ci_u32_e32 v4, vcc_lo, v12, v4, vcc_lo
	s_and_b32 vcc_lo, exec_lo, s2
	s_wait_kmcnt 0x0
	v_mul_lo_u32 v11, s26, v4
	v_mul_lo_u32 v12, s27, v10
	v_mad_co_u64_u32 v[7:8], null, s26, v10, v[7:8]
	v_mul_lo_u32 v4, s24, v4
	v_mul_lo_u32 v13, s25, v10
	v_mad_co_u64_u32 v[1:2], null, s24, v10, v[1:2]
	s_delay_alu instid0(VALU_DEP_4) | instskip(NEXT) | instid1(VALU_DEP_2)
	v_add3_u32 v8, v12, v8, v11
	v_add3_u32 v2, v13, v2, v4
	s_wait_alu 0xfffe
	s_cbranch_vccnz .LBB0_8
; %bb.7:                                ;   in Loop: Header=BB0_2 Depth=1
	v_dual_mov_b32 v12, v6 :: v_dual_mov_b32 v11, v5
	s_branch .LBB0_2
.LBB0_8:
	s_load_b64 s[0:1], s[0:1], 0x28
	v_mul_hi_u32 v4, 0xaaaaaaab, v3
	s_lshl_b64 s[10:11], s[10:11], 3
	s_wait_alu 0xfffe
	s_add_nc_u64 s[2:3], s[14:15], s[10:11]
	s_delay_alu instid0(VALU_DEP_1) | instskip(NEXT) | instid1(VALU_DEP_1)
	v_lshrrev_b32_e32 v4, 1, v4
	v_lshl_add_u32 v9, v4, 1, v4
	v_mul_hi_u32 v4, 0x3030304, v0
	s_delay_alu instid0(VALU_DEP_2) | instskip(SKIP_3) | instid1(VALU_DEP_1)
	v_sub_nc_u32_e32 v9, v3, v9
	s_wait_kmcnt 0x0
	v_cmp_gt_u64_e32 vcc_lo, s[0:1], v[5:6]
	v_cmp_le_u64_e64 s0, s[0:1], v[5:6]
                                        ; implicit-def: $vgpr3
	s_and_saveexec_b32 s1, s0
	s_wait_alu 0xfffe
	s_xor_b32 s0, exec_lo, s1
; %bb.9:
	v_mul_u32_u24_e32 v3, 0x55, v4
                                        ; implicit-def: $vgpr4
                                        ; implicit-def: $vgpr7_vgpr8
	s_delay_alu instid0(VALU_DEP_1)
	v_sub_nc_u32_e32 v3, v0, v3
                                        ; implicit-def: $vgpr0
; %bb.10:
	s_wait_alu 0xfffe
	s_or_saveexec_b32 s1, s0
	s_load_b64 s[2:3], s[2:3], 0x0
	v_mul_u32_u24_e32 v9, 0x4a7, v9
	s_delay_alu instid0(VALU_DEP_1)
	v_lshlrev_b32_e32 v24, 2, v9
	s_xor_b32 exec_lo, exec_lo, s1
	s_cbranch_execz .LBB0_14
; %bb.11:
	s_add_nc_u64 s[10:11], s[12:13], s[10:11]
	v_lshlrev_b64_e32 v[7:8], 2, v[7:8]
	s_load_b64 s[10:11], s[10:11], 0x0
	s_wait_kmcnt 0x0
	v_mul_lo_u32 v3, s11, v5
	v_mul_lo_u32 v12, s10, v6
	v_mad_co_u64_u32 v[10:11], null, s10, v5, 0
	s_delay_alu instid0(VALU_DEP_1) | instskip(SKIP_1) | instid1(VALU_DEP_2)
	v_add3_u32 v11, v11, v12, v3
	v_mul_u32_u24_e32 v3, 0x55, v4
	v_lshlrev_b64_e32 v[10:11], 2, v[10:11]
	s_delay_alu instid0(VALU_DEP_2) | instskip(NEXT) | instid1(VALU_DEP_1)
	v_sub_nc_u32_e32 v3, v0, v3
	v_lshlrev_b32_e32 v12, 2, v3
	s_delay_alu instid0(VALU_DEP_3) | instskip(SKIP_1) | instid1(VALU_DEP_4)
	v_add_co_u32 v0, s0, s4, v10
	s_wait_alu 0xf1ff
	v_add_co_ci_u32_e64 v4, s0, s5, v11, s0
	s_mov_b32 s4, exec_lo
	s_delay_alu instid0(VALU_DEP_2) | instskip(SKIP_1) | instid1(VALU_DEP_2)
	v_add_co_u32 v7, s0, v0, v7
	s_wait_alu 0xf1ff
	v_add_co_ci_u32_e64 v8, s0, v4, v8, s0
	v_add3_u32 v0, 0, v24, v12
	s_delay_alu instid0(VALU_DEP_3) | instskip(SKIP_1) | instid1(VALU_DEP_3)
	v_add_co_u32 v10, s0, v7, v12
	s_wait_alu 0xf1ff
	v_add_co_ci_u32_e64 v11, s0, 0, v8, s0
	s_clause 0xd
	global_load_b32 v4, v[10:11], off
	global_load_b32 v13, v[10:11], off offset:340
	global_load_b32 v14, v[10:11], off offset:680
	;; [unrolled: 1-line block ×13, first 2 shown]
	v_add_nc_u32_e32 v11, 0x400, v0
	v_add_nc_u32_e32 v12, 0x600, v0
	;; [unrolled: 1-line block ×5, first 2 shown]
	s_wait_loadcnt 0xc
	ds_store_2addr_b32 v0, v4, v13 offset1:85
	s_wait_loadcnt 0xa
	ds_store_2addr_b32 v0, v14, v15 offset0:170 offset1:255
	s_wait_loadcnt 0x8
	ds_store_2addr_b32 v11, v16, v17 offset0:84 offset1:169
	;; [unrolled: 2-line block ×6, first 2 shown]
	v_cmpx_eq_u32_e32 0x54, v3
	s_cbranch_execz .LBB0_13
; %bb.12:
	global_load_b32 v4, v[7:8], off offset:4760
	v_mov_b32_e32 v3, 0x54
	s_wait_loadcnt 0x0
	ds_store_b32 v0, v4 offset:4424
.LBB0_13:
	s_wait_alu 0xfffe
	s_or_b32 exec_lo, exec_lo, s4
.LBB0_14:
	s_delay_alu instid0(SALU_CYCLE_1)
	s_or_b32 exec_lo, exec_lo, s1
	v_lshl_add_u32 v0, v9, 2, 0
	v_lshlrev_b32_e32 v4, 2, v3
	global_wb scope:SCOPE_SE
	s_wait_dscnt 0x0
	s_wait_kmcnt 0x0
	s_barrier_signal -1
	s_barrier_wait -1
	global_inv scope:SCOPE_SE
	v_add_nc_u32_e32 v23, v0, v4
	v_sub_nc_u32_e32 v10, v0, v4
	s_mov_b32 s1, exec_lo
                                        ; implicit-def: $vgpr7_vgpr8
	ds_load_u16 v13, v23
	ds_load_u16 v14, v10 offset:4760
	s_wait_dscnt 0x0
	v_add_f16_e32 v12, v14, v13
	v_sub_f16_e32 v11, v13, v14
	v_cmpx_ne_u32_e32 0, v3
	s_wait_alu 0xfffe
	s_xor_b32 s1, exec_lo, s1
	s_cbranch_execz .LBB0_16
; %bb.15:
	v_mov_b32_e32 v4, 0
	v_add_f16_e32 v12, v14, v13
	v_sub_f16_e32 v13, v13, v14
	s_delay_alu instid0(VALU_DEP_3) | instskip(NEXT) | instid1(VALU_DEP_1)
	v_lshlrev_b64_e32 v[7:8], 2, v[3:4]
	v_add_co_u32 v7, s0, s8, v7
	s_wait_alu 0xf1ff
	s_delay_alu instid0(VALU_DEP_2)
	v_add_co_ci_u32_e64 v8, s0, s9, v8, s0
	global_load_b32 v7, v[7:8], off offset:4692
	ds_load_u16 v8, v10 offset:4762
	ds_load_u16 v11, v23 offset:2
	s_wait_dscnt 0x0
	v_add_f16_e32 v14, v8, v11
	v_sub_f16_e32 v8, v11, v8
	s_wait_loadcnt 0x0
	v_lshrrev_b32_e32 v15, 16, v7
	s_delay_alu instid0(VALU_DEP_1) | instskip(NEXT) | instid1(VALU_DEP_3)
	v_fma_f16 v16, -v13, v15, v12
	v_fma_f16 v17, v14, v15, -v8
	v_fma_f16 v11, v14, v15, v8
	v_fma_f16 v12, v13, v15, v12
	s_delay_alu instid0(VALU_DEP_4) | instskip(NEXT) | instid1(VALU_DEP_4)
	v_fmac_f16_e32 v16, v7, v14
	v_fmac_f16_e32 v17, v13, v7
	s_delay_alu instid0(VALU_DEP_4) | instskip(NEXT) | instid1(VALU_DEP_4)
	v_fmac_f16_e32 v11, v13, v7
	v_fma_f16 v12, -v7, v14, v12
	v_dual_mov_b32 v8, v4 :: v_dual_mov_b32 v7, v3
	s_delay_alu instid0(VALU_DEP_4)
	v_pack_b32_f16 v13, v16, v17
	ds_store_b32 v10, v13 offset:4760
.LBB0_16:
	s_wait_alu 0xfffe
	s_and_not1_saveexec_b32 s0, s1
	s_cbranch_execz .LBB0_18
; %bb.17:
	ds_load_b32 v4, v0 offset:2380
	v_mov_b32_e32 v7, 0
	v_mov_b32_e32 v8, 0
	s_wait_dscnt 0x0
	v_pk_mul_f16 v4, 0xc0004000, v4
	ds_store_b32 v0, v4 offset:2380
.LBB0_18:
	s_wait_alu 0xfffe
	s_or_b32 exec_lo, exec_lo, s0
	v_lshlrev_b64_e32 v[7:8], 2, v[7:8]
	s_add_nc_u64 s[0:1], s[8:9], 0x1254
	s_wait_alu 0xfffe
	s_delay_alu instid0(VALU_DEP_1) | instskip(SKIP_1) | instid1(VALU_DEP_2)
	v_add_co_u32 v7, s0, s0, v7
	s_wait_alu 0xf1ff
	v_add_co_ci_u32_e64 v8, s0, s1, v8, s0
	s_mov_b32 s1, exec_lo
	s_clause 0x5
	global_load_b32 v4, v[7:8], off offset:340
	global_load_b32 v13, v[7:8], off offset:680
	;; [unrolled: 1-line block ×6, first 2 shown]
	v_perm_b32 v8, v11, v12, 0x5040100
	ds_store_b32 v23, v8
	ds_load_b32 v8, v23 offset:340
	ds_load_b32 v11, v10 offset:4420
	s_wait_dscnt 0x1
	v_lshrrev_b32_e32 v12, 16, v8
	s_wait_dscnt 0x0
	v_lshrrev_b32_e32 v17, 16, v11
	v_add_f16_e32 v18, v8, v11
	v_sub_f16_e32 v8, v8, v11
	s_delay_alu instid0(VALU_DEP_3) | instskip(SKIP_3) | instid1(VALU_DEP_1)
	v_add_f16_e32 v11, v17, v12
	v_sub_f16_e32 v12, v12, v17
	s_wait_loadcnt 0x5
	v_lshrrev_b32_e32 v19, 16, v4
	v_fma_f16 v17, v8, v19, v18
	s_delay_alu instid0(VALU_DEP_3) | instskip(SKIP_2) | instid1(VALU_DEP_4)
	v_fma_f16 v20, v11, v19, v12
	v_fma_f16 v18, -v8, v19, v18
	v_fma_f16 v12, v11, v19, -v12
	v_fma_f16 v17, -v4, v11, v17
	s_delay_alu instid0(VALU_DEP_4) | instskip(NEXT) | instid1(VALU_DEP_4)
	v_fmac_f16_e32 v20, v8, v4
	v_fmac_f16_e32 v18, v4, v11
	s_delay_alu instid0(VALU_DEP_4) | instskip(NEXT) | instid1(VALU_DEP_3)
	v_fmac_f16_e32 v12, v8, v4
	v_pack_b32_f16 v4, v17, v20
	s_wait_loadcnt 0x4
	v_lshrrev_b32_e32 v17, 16, v13
	s_delay_alu instid0(VALU_DEP_3)
	v_pack_b32_f16 v8, v18, v12
	ds_store_b32 v23, v4 offset:340
	ds_store_b32 v10, v8 offset:4420
	ds_load_b32 v4, v23 offset:680
	ds_load_b32 v8, v10 offset:4080
	s_wait_dscnt 0x1
	v_lshrrev_b32_e32 v11, 16, v4
	s_wait_dscnt 0x0
	v_lshrrev_b32_e32 v12, 16, v8
	v_add_f16_e32 v18, v4, v8
	v_sub_f16_e32 v4, v4, v8
	s_delay_alu instid0(VALU_DEP_3) | instskip(SKIP_1) | instid1(VALU_DEP_3)
	v_add_f16_e32 v8, v12, v11
	v_sub_f16_e32 v11, v11, v12
	v_fma_f16 v12, v4, v17, v18
	v_fma_f16 v18, -v4, v17, v18
	s_delay_alu instid0(VALU_DEP_3) | instskip(SKIP_1) | instid1(VALU_DEP_4)
	v_fma_f16 v19, v8, v17, v11
	v_fma_f16 v11, v8, v17, -v11
	v_fma_f16 v12, -v13, v8, v12
	s_delay_alu instid0(VALU_DEP_4) | instskip(NEXT) | instid1(VALU_DEP_4)
	v_fmac_f16_e32 v18, v13, v8
	v_fmac_f16_e32 v19, v4, v13
	s_delay_alu instid0(VALU_DEP_4) | instskip(SKIP_2) | instid1(VALU_DEP_3)
	v_fmac_f16_e32 v11, v4, v13
	s_wait_loadcnt 0x3
	v_lshrrev_b32_e32 v13, 16, v14
	v_pack_b32_f16 v4, v12, v19
	s_delay_alu instid0(VALU_DEP_3)
	v_pack_b32_f16 v8, v18, v11
	ds_store_b32 v23, v4 offset:680
	ds_store_b32 v10, v8 offset:4080
	ds_load_b32 v4, v23 offset:1020
	ds_load_b32 v8, v10 offset:3740
	s_wait_dscnt 0x1
	v_lshrrev_b32_e32 v11, 16, v4
	s_wait_dscnt 0x0
	v_lshrrev_b32_e32 v12, 16, v8
	v_add_f16_e32 v17, v4, v8
	v_sub_f16_e32 v4, v4, v8
	s_delay_alu instid0(VALU_DEP_3) | instskip(SKIP_1) | instid1(VALU_DEP_3)
	v_add_f16_e32 v8, v12, v11
	v_sub_f16_e32 v11, v11, v12
	v_fma_f16 v12, v4, v13, v17
	v_fma_f16 v17, -v4, v13, v17
	s_delay_alu instid0(VALU_DEP_3) | instskip(SKIP_1) | instid1(VALU_DEP_4)
	v_fma_f16 v18, v8, v13, v11
	v_fma_f16 v11, v8, v13, -v11
	v_fma_f16 v12, -v14, v8, v12
	s_delay_alu instid0(VALU_DEP_4) | instskip(SKIP_4) | instid1(VALU_DEP_2)
	v_fmac_f16_e32 v17, v14, v8
	s_wait_loadcnt 0x2
	v_lshrrev_b32_e32 v13, 16, v15
	v_fmac_f16_e32 v18, v4, v14
	v_fmac_f16_e32 v11, v4, v14
	v_pack_b32_f16 v4, v12, v18
	s_delay_alu instid0(VALU_DEP_2)
	v_pack_b32_f16 v8, v17, v11
	ds_store_b32 v23, v4 offset:1020
	ds_store_b32 v10, v8 offset:3740
	ds_load_b32 v4, v23 offset:1360
	ds_load_b32 v8, v10 offset:3400
	s_wait_dscnt 0x1
	v_lshrrev_b32_e32 v11, 16, v4
	s_wait_dscnt 0x0
	v_lshrrev_b32_e32 v12, 16, v8
	v_add_f16_e32 v14, v4, v8
	v_sub_f16_e32 v4, v4, v8
	s_delay_alu instid0(VALU_DEP_3) | instskip(SKIP_1) | instid1(VALU_DEP_3)
	v_add_f16_e32 v8, v12, v11
	v_sub_f16_e32 v11, v11, v12
	v_fma_f16 v12, v4, v13, v14
	v_fma_f16 v14, -v4, v13, v14
	s_delay_alu instid0(VALU_DEP_3) | instskip(SKIP_1) | instid1(VALU_DEP_4)
	v_fma_f16 v17, v8, v13, v11
	v_fma_f16 v11, v8, v13, -v11
	v_fma_f16 v12, -v15, v8, v12
	s_delay_alu instid0(VALU_DEP_4) | instskip(SKIP_4) | instid1(VALU_DEP_2)
	v_fmac_f16_e32 v14, v15, v8
	s_wait_loadcnt 0x1
	v_lshrrev_b32_e32 v13, 16, v16
	v_fmac_f16_e32 v17, v4, v15
	v_fmac_f16_e32 v11, v4, v15
	v_pack_b32_f16 v4, v12, v17
	s_delay_alu instid0(VALU_DEP_2)
	v_pack_b32_f16 v8, v14, v11
	ds_store_b32 v23, v4 offset:1360
	ds_store_b32 v10, v8 offset:3400
	ds_load_b32 v4, v23 offset:1700
	ds_load_b32 v8, v10 offset:3060
	s_wait_dscnt 0x1
	v_lshrrev_b32_e32 v11, 16, v4
	s_wait_dscnt 0x0
	v_lshrrev_b32_e32 v12, 16, v8
	v_add_f16_e32 v14, v4, v8
	v_sub_f16_e32 v4, v4, v8
	s_delay_alu instid0(VALU_DEP_3) | instskip(SKIP_1) | instid1(VALU_DEP_3)
	v_add_f16_e32 v8, v12, v11
	v_sub_f16_e32 v11, v11, v12
	v_fma_f16 v12, v4, v13, v14
	v_fma_f16 v14, -v4, v13, v14
	s_delay_alu instid0(VALU_DEP_3) | instskip(SKIP_1) | instid1(VALU_DEP_4)
	v_fma_f16 v15, v8, v13, v11
	v_fma_f16 v11, v8, v13, -v11
	v_fma_f16 v12, -v16, v8, v12
	s_delay_alu instid0(VALU_DEP_4) | instskip(SKIP_4) | instid1(VALU_DEP_2)
	v_fmac_f16_e32 v14, v16, v8
	s_wait_loadcnt 0x0
	v_lshrrev_b32_e32 v13, 16, v7
	v_fmac_f16_e32 v15, v4, v16
	v_fmac_f16_e32 v11, v4, v16
	v_pack_b32_f16 v4, v12, v15
	s_delay_alu instid0(VALU_DEP_2)
	v_pack_b32_f16 v8, v14, v11
	ds_store_b32 v23, v4 offset:1700
	ds_store_b32 v10, v8 offset:3060
	ds_load_b32 v4, v23 offset:2040
	ds_load_b32 v8, v10 offset:2720
	s_wait_dscnt 0x1
	v_lshrrev_b32_e32 v11, 16, v4
	s_wait_dscnt 0x0
	v_lshrrev_b32_e32 v12, 16, v8
	v_add_f16_e32 v14, v4, v8
	v_sub_f16_e32 v4, v4, v8
	s_delay_alu instid0(VALU_DEP_3) | instskip(SKIP_1) | instid1(VALU_DEP_3)
	v_add_f16_e32 v8, v12, v11
	v_sub_f16_e32 v11, v11, v12
	v_fma_f16 v12, v4, v13, v14
	v_fma_f16 v14, -v4, v13, v14
	s_delay_alu instid0(VALU_DEP_3)
	v_fma_f16 v15, v8, v13, v11
	v_fma_f16 v11, v8, v13, -v11
	v_lshl_add_u32 v13, v3, 2, 0
	v_fma_f16 v12, -v7, v8, v12
	v_fmac_f16_e32 v14, v7, v8
	v_fmac_f16_e32 v15, v4, v7
	;; [unrolled: 1-line block ×3, first 2 shown]
	v_lshl_add_u32 v4, v9, 2, v13
	s_delay_alu instid0(VALU_DEP_3) | instskip(NEXT) | instid1(VALU_DEP_3)
	v_pack_b32_f16 v7, v12, v15
	v_pack_b32_f16 v8, v14, v11
	s_delay_alu instid0(VALU_DEP_3)
	v_add_nc_u32_e32 v9, 0x1000, v4
	ds_store_b32 v23, v7 offset:2040
	ds_store_b32 v10, v8 offset:2720
	global_wb scope:SCOPE_SE
	s_wait_dscnt 0x0
	s_barrier_signal -1
	s_barrier_wait -1
	global_inv scope:SCOPE_SE
	global_wb scope:SCOPE_SE
	s_barrier_signal -1
	s_barrier_wait -1
	global_inv scope:SCOPE_SE
	ds_load_2addr_b32 v[21:22], v4 offset0:70 offset1:140
	ds_load_2addr_b32 v[7:8], v9 offset0:26 offset1:96
	v_add_nc_u32_e32 v27, 0xc00, v4
	v_add_nc_u32_e32 v30, 0x200, v4
	ds_load_2addr_b32 v[9:10], v27 offset0:142 offset1:212
	ds_load_2addr_b32 v[19:20], v30 offset0:82 offset1:152
	v_add_nc_u32_e32 v28, 0x400, v4
	v_add_nc_u32_e32 v13, 0x600, v4
	;; [unrolled: 1-line block ×3, first 2 shown]
	ds_load_2addr_b32 v[11:12], v27 offset0:2 offset1:72
	ds_load_2addr_b32 v[17:18], v28 offset0:94 offset1:164
	;; [unrolled: 1-line block ×4, first 2 shown]
	ds_load_b32 v31, v23
	global_wb scope:SCOPE_SE
	s_wait_dscnt 0x0
	s_barrier_signal -1
	s_barrier_wait -1
	global_inv scope:SCOPE_SE
	v_pk_add_f16 v41, v21, v8 neg_lo:[0,1] neg_hi:[0,1]
	v_pk_add_f16 v47, v8, v21
	v_pk_add_f16 v38, v22, v7 neg_lo:[0,1] neg_hi:[0,1]
	v_pk_add_f16 v46, v7, v22
	s_delay_alu instid0(VALU_DEP_4) | instskip(SKIP_1) | instid1(VALU_DEP_4)
	v_pk_mul_f16 v25, 0xbb29, v41 op_sel_hi:[0,1]
	v_pk_add_f16 v37, v19, v10 neg_lo:[0,1] neg_hi:[0,1]
	v_pk_mul_f16 v26, 0xba62, v38 op_sel_hi:[0,1]
	v_pk_add_f16 v45, v10, v19
	v_pk_add_f16 v36, v20, v9 neg_lo:[0,1] neg_hi:[0,1]
	v_pk_fma_f16 v57, 0x3722, v47, v25 op_sel:[0,0,1] op_sel_hi:[0,1,0]
	v_lshrrev_b32_e32 v51, 16, v31
	v_pk_mul_f16 v48, 0x31e1, v37 op_sel_hi:[0,1]
	v_pk_fma_f16 v59, 0x3722, v47, v25 op_sel:[0,0,1] op_sel_hi:[0,1,0] neg_lo:[0,0,1] neg_hi:[0,0,1]
	v_pk_fma_f16 v60, 0xb8d2, v46, v26 op_sel:[0,0,1] op_sel_hi:[0,1,0]
	v_lshrrev_b32_e32 v25, 16, v57
	v_pk_add_f16 v44, v9, v20
	v_pk_add_f16 v35, v17, v12 neg_lo:[0,1] neg_hi:[0,1]
	v_pk_mul_f16 v49, 0x3bb2, v36 op_sel_hi:[0,1]
	v_pk_fma_f16 v62, 0xb8d2, v46, v26 op_sel:[0,0,1] op_sel_hi:[0,1,0] neg_lo:[0,0,1] neg_hi:[0,0,1]
	v_pk_fma_f16 v63, 0xbbdd, v45, v48 op_sel:[0,0,1] op_sel_hi:[0,1,0]
	v_add_f16_e32 v26, v31, v59
	v_lshrrev_b32_e32 v55, 16, v60
	v_add_f16_e32 v25, v51, v25
	v_pk_add_f16 v43, v12, v17
	v_pk_add_f16 v34, v18, v11 neg_lo:[0,1] neg_hi:[0,1]
	v_pk_mul_f16 v50, 0x3964, v35 op_sel_hi:[0,1]
	v_pk_fma_f16 v64, 0xbbdd, v45, v48 op_sel:[0,0,1] op_sel_hi:[0,1,0] neg_lo:[0,0,1] neg_hi:[0,0,1]
	v_pk_fma_f16 v65, 0xb461, v44, v49 op_sel:[0,0,1] op_sel_hi:[0,1,0]
	v_lshrrev_b32_e32 v48, 16, v63
	v_add_f16_e32 v26, v62, v26
	v_add_f16_e32 v25, v55, v25
	v_pk_add_f16 v42, v11, v18
	v_pk_add_f16 v33, v15, v14 neg_lo:[0,1] neg_hi:[0,1]
	v_pk_mul_f16 v52, 0xb5c8, v34 op_sel_hi:[0,1]
	v_pk_fma_f16 v67, 0xb461, v44, v49 op_sel:[0,0,1] op_sel_hi:[0,1,0] neg_lo:[0,0,1] neg_hi:[0,0,1]
	v_pk_fma_f16 v66, 0x39e9, v43, v50 op_sel:[0,0,1] op_sel_hi:[0,1,0]
	v_lshrrev_b32_e32 v49, 16, v65
	v_add_f16_e32 v26, v64, v26
	;; [unrolled: 8-line block ×3, first 2 shown]
	v_add_f16_e32 v25, v49, v25
	v_pk_add_f16 v39, v13, v16
	v_pk_mul_f16 v54, 0xb836, v32 op_sel_hi:[0,1]
	v_pk_fma_f16 v70, 0x3b76, v42, v52 op_sel:[0,0,1] op_sel_hi:[0,1,0] neg_lo:[0,0,1] neg_hi:[0,0,1]
	v_pk_fma_f16 v56, 0x2de8, v40, v53 op_sel:[0,0,1] op_sel_hi:[0,1,0]
	v_lshrrev_b32_e32 v49, 16, v69
	v_add_f16_e32 v26, v68, v26
	v_add_f16_e32 v25, v48, v25
	v_pk_fma_f16 v61, 0x2de8, v40, v53 op_sel:[0,0,1] op_sel_hi:[0,1,0] neg_lo:[0,0,1] neg_hi:[0,0,1]
	v_pk_fma_f16 v53, 0xbacd, v39, v54 op_sel:[0,0,1] op_sel_hi:[0,1,0]
	v_lshrrev_b32_e32 v48, 16, v56
	v_add_f16_e32 v26, v70, v26
	v_add_f16_e32 v25, v49, v25
	v_pk_fma_f16 v55, 0xbacd, v39, v54 op_sel:[0,0,1] op_sel_hi:[0,1,0] neg_lo:[0,0,1] neg_hi:[0,0,1]
	v_lshrrev_b32_e32 v49, 16, v53
	s_delay_alu instid0(VALU_DEP_4) | instskip(NEXT) | instid1(VALU_DEP_4)
	v_add_f16_e32 v26, v61, v26
	v_add_f16_e32 v48, v48, v25
	s_delay_alu instid0(VALU_DEP_2) | instskip(NEXT) | instid1(VALU_DEP_2)
	v_add_f16_e32 v25, v55, v26
	v_add_f16_e32 v26, v49, v48
	v_cmpx_gt_u32_e32 0x46, v3
	s_cbranch_execz .LBB0_20
; %bb.19:
	v_mul_f16_e32 v93, 0xbbf7, v41
	v_lshrrev_b32_e32 v76, 16, v47
	v_mul_f16_e32 v91, 0xb1e1, v38
	v_lshrrev_b32_e32 v75, 16, v46
	;; [unrolled: 2-line block ×3, first 2 shown]
	v_fmamk_f16 v48, v76, 0x2de8, v93
	v_lshrrev_b32_e32 v77, 16, v41
	v_fmamk_f16 v49, v75, 0xbbdd, v91
	v_mul_f16_e32 v89, 0x35c8, v36
	v_lshrrev_b32_e32 v73, 16, v44
	v_add_f16_e32 v48, v51, v48
	v_fmamk_f16 v50, v72, 0xb461, v90
	v_mul_f16_e32 v95, 0xbbf7, v77
	v_lshrrev_b32_e32 v78, 16, v38
	v_mul_f16_e32 v92, 0xbb29, v35
	v_add_f16_e32 v48, v49, v48
	v_lshrrev_b32_e32 v74, 16, v43
	v_fmamk_f16 v49, v73, 0x3b76, v89
	v_fma_f16 v52, v47, 0x2de8, -v95
	v_mul_f16_e32 v96, 0xb1e1, v78
	v_add_f16_e32 v48, v50, v48
	v_lshrrev_b32_e32 v80, 16, v37
	v_fmamk_f16 v50, v74, 0x3722, v92
	v_add_f16_e32 v52, v31, v52
	v_lshrrev_b32_e32 v81, 16, v36
	v_add_f16_e32 v48, v49, v48
	v_fma_f16 v49, v46, 0xbbdd, -v96
	v_mul_f16_e32 v98, 0x3bb2, v80
	v_mul_f16_e32 v94, 0xb836, v34
	v_lshrrev_b32_e32 v79, 16, v42
	v_mul_f16_e32 v99, 0x35c8, v81
	v_add_f16_e32 v49, v49, v52
	v_fma_f16 v52, v45, 0xb461, -v98
	v_lshrrev_b32_e32 v83, 16, v35
	v_add_f16_e32 v48, v50, v48
	v_fmamk_f16 v50, v79, 0xbacd, v94
	v_mul_f16_e32 v97, 0x3a62, v33
	v_lshrrev_b32_e32 v86, 16, v40
	v_mul_f16_e32 v102, 0xbbb2, v41
	v_add_f16_e32 v49, v52, v49
	v_fma_f16 v52, v44, 0x3b76, -v99
	v_mul_f16_e32 v100, 0xbb29, v83
	v_lshrrev_b32_e32 v84, 16, v34
	v_add_f16_e32 v48, v50, v48
	v_fmamk_f16 v50, v86, 0xb8d2, v97
	v_mul_f16_e32 v104, 0x3964, v32
	v_fmamk_f16 v54, v76, 0xb461, v102
	v_mul_f16_e32 v105, 0x3836, v38
	v_lshrrev_b32_e32 v87, 16, v39
	v_add_f16_e32 v49, v52, v49
	v_fma_f16 v52, v43, 0x3722, -v100
	v_mul_f16_e32 v101, 0xb836, v84
	v_lshrrev_b32_e32 v85, 16, v33
	v_add_f16_e32 v54, v51, v54
	v_fmamk_f16 v58, v75, 0xbacd, v105
	v_mul_f16_e32 v106, 0x3964, v37
	v_add_f16_e32 v48, v50, v48
	v_fmamk_f16 v50, v87, 0x39e9, v104
	v_mul_f16_e32 v109, 0xbbb2, v77
	v_add_f16_e32 v49, v52, v49
	v_fma_f16 v52, v42, 0xbacd, -v101
	v_mul_f16_e32 v103, 0x3a62, v85
	v_lshrrev_b32_e32 v82, 16, v32
	v_add_f16_e32 v54, v58, v54
	v_fmamk_f16 v58, v72, 0x39e9, v106
	v_mul_f16_e32 v108, 0xbb29, v36
	v_add_f16_e32 v48, v50, v48
	v_fma_f16 v50, v47, 0xb461, -v109
	v_mul_f16_e32 v111, 0x3836, v78
	v_add_f16_e32 v49, v52, v49
	v_fma_f16 v52, v40, 0xb8d2, -v103
	v_mul_f16_e32 v107, 0x3964, v82
	v_add_f16_e32 v54, v58, v54
	v_fmamk_f16 v58, v73, 0x3722, v108
	v_mul_f16_e32 v110, 0xb1e1, v35
	v_add_f16_e32 v50, v31, v50
	v_fma_f16 v71, v46, 0xbacd, -v111
	v_mul_f16_e32 v113, 0x3964, v80
	v_add_f16_e32 v49, v52, v49
	v_fma_f16 v52, v39, 0x39e9, -v107
	v_add_f16_e32 v54, v58, v54
	v_fmamk_f16 v58, v74, 0xbbdd, v110
	v_mul_f16_e32 v112, 0x3bf7, v34
	v_add_f16_e32 v50, v71, v50
	v_fma_f16 v71, v45, 0x39e9, -v113
	v_mul_f16_e32 v115, 0xbb29, v81
	v_add_f16_e32 v54, v58, v54
	v_fmamk_f16 v58, v79, 0x2de8, v112
	v_mul_f16_e32 v114, 0xb5c8, v33
	v_add_f16_e32 v49, v52, v49
	v_add_f16_e32 v50, v71, v50
	v_fma_f16 v52, v44, 0x3722, -v115
	v_mul_f16_e32 v116, 0xb1e1, v83
	v_mul_f16_e32 v88, 0xba62, v41
	v_add_f16_e32 v54, v58, v54
	v_fmamk_f16 v58, v86, 0x3b76, v114
	v_mul_f16_e32 v117, 0xba62, v32
	v_add_f16_e32 v50, v52, v50
	v_fma_f16 v52, v43, 0xbbdd, -v116
	v_mul_f16_e32 v118, 0x3bf7, v84
	v_fmamk_f16 v71, v76, 0xb8d2, v88
	v_mul_f16_e32 v119, 0x3bb2, v38
	v_add_f16_e32 v54, v58, v54
	v_fmamk_f16 v58, v87, 0xb8d2, v117
	v_add_f16_e32 v50, v52, v50
	v_fma_f16 v52, v42, 0x2de8, -v118
	v_add_f16_e32 v71, v51, v71
	v_fmamk_f16 v121, v75, 0xb461, v119
	v_mul_f16_e32 v122, 0xb5c8, v37
	v_mul_f16_e32 v120, 0xb5c8, v85
	v_add_f16_e32 v52, v52, v50
	v_add_f16_e32 v50, v58, v54
	v_add_f16_e32 v54, v121, v71
	v_fmamk_f16 v58, v72, 0x3b76, v122
	v_mul_f16_e32 v121, 0xb836, v36
	v_mul_f16_e32 v124, 0xba62, v77
	v_fma_f16 v123, v40, 0x3b76, -v120
	v_mul_f16_e32 v125, 0x3bf7, v35
	v_add_f16_e32 v54, v58, v54
	v_fmamk_f16 v58, v73, 0xbacd, v121
	v_fma_f16 v126, v47, 0xb8d2, -v124
	v_mul_f16_e32 v127, 0x3bb2, v78
	v_add_f16_e32 v52, v123, v52
	v_mul_f16_e32 v123, 0xba62, v82
	v_add_f16_e32 v54, v58, v54
	v_fmamk_f16 v58, v74, 0x2de8, v125
	v_mul_f16_e64 v128, 0xb964, v34
	v_add_f16_e32 v126, v31, v126
	v_fma_f16 v129, v46, 0xb461, -v127
	v_mul_f16_e64 v130, 0xb5c8, v80
	v_fma_f16 v71, v39, 0xb8d2, -v123
	v_add_f16_e32 v54, v58, v54
	v_fma_f16 v58, 0x39e9, v79, v128
	v_mul_f16_e64 v131, 0xb1e1, v33
	v_add_f16_e64 v126, v129, v126
	v_fma_f16 v129, v45, 0x3b76, -v130
	v_mul_f16_e64 v132, 0xb836, v81
	v_add_f16_e32 v54, v58, v54
	v_fma_f16 v58, 0xbbdd, v86, v131
	v_add_f16_e32 v52, v71, v52
	v_add_f16_e64 v71, v129, v126
	v_fma_f16 v126, v44, 0xbacd, -v132
	v_mul_f16_e64 v129, 0xb836, v41
	v_mul_f16_e64 v133, 0x3bf7, v83
	v_add_f16_e32 v54, v58, v54
	v_fma_f16 v88, v76, 0xb8d2, -v88
	v_add_f16_e32 v58, v126, v71
	v_fma_f16 v71, 0xbacd, v76, v129
	v_mul_f16_e32 v126, 0x3b29, v38
	v_fma_f16 v129, v76, 0xbacd, -v129
	v_fma_f16 v102, v76, 0xb461, -v102
	;; [unrolled: 1-line block ×3, first 2 shown]
	v_mul_f16_e64 v134, 0x3b29, v32
	v_fma_f16 v135, v43, 0x2de8, -v133
	v_mul_f16_e64 v136, 0xb964, v84
	v_add_f16_e32 v71, v51, v71
	v_fma_f16 v138, 0x3722, v75, v126
	v_mul_f16_e64 v139, 0xbbf7, v37
	v_add_f16_e64 v129, v51, v129
	v_fma_f16 v126, v75, 0x3722, -v126
	v_add_f16_e32 v88, v51, v88
	v_fma_f16 v119, v75, 0xb461, -v119
	v_add_f16_e32 v102, v51, v102
	;; [unrolled: 2-line block ×3, first 2 shown]
	v_fma_f16 v91, v75, 0xbbdd, -v91
	v_bfi_b32 v57, 0xffff, v57, v59
	v_bfi_b32 v59, 0xffff, v60, v62
	;; [unrolled: 1-line block ×3, first 2 shown]
	v_mul_f16_e32 v67, 0xb964, v77
	v_fma_f16 v137, 0x3722, v87, v134
	v_add_f16_e64 v58, v135, v58
	v_fma_f16 v135, v42, 0x39e9, -v136
	v_mul_f16_e64 v140, 0xb1e1, v85
	v_add_f16_e64 v71, v138, v71
	v_fma_f16 v138, 0x2de8, v72, v139
	v_mul_f16_e64 v141, 0x3a62, v36
	v_add_f16_e64 v126, v126, v129
	v_fma_f16 v129, v72, 0x2de8, -v139
	v_add_f16_e32 v88, v119, v88
	v_fma_f16 v119, v72, 0x3b76, -v122
	v_add_f16_e32 v102, v105, v102
	;; [unrolled: 2-line block ×3, first 2 shown]
	v_fma_f16 v90, v72, 0xb461, -v90
	v_bfi_b32 v65, 0xffff, v66, v68
	v_bfi_b32 v66, 0xffff, v69, v70
	;; [unrolled: 1-line block ×3, first 2 shown]
	v_fmamk_f16 v61, v47, 0x39e9, v67
	v_mul_f16_e32 v70, 0xbbf7, v78
	v_add_f16_e64 v58, v135, v58
	v_fma_f16 v135, v40, 0xbbdd, -v140
	v_add_f16_e64 v71, v138, v71
	v_fma_f16 v138, 0xb8d2, v73, v141
	v_mul_f16_e64 v143, 0xb5c8, v35
	v_add_f16_e64 v54, v137, v54
	v_mul_f16_e64 v137, 0xb836, v77
	v_add_f16_e64 v126, v129, v126
	v_fma_f16 v129, v73, 0xb8d2, -v141
	v_add_f16_e32 v119, v119, v88
	v_fma_f16 v121, v73, 0xbacd, -v121
	v_add_f16_e32 v102, v105, v102
	;; [unrolled: 2-line block ×3, first 2 shown]
	v_fma_f16 v89, v73, 0x3b76, -v89
	v_mul_f16_e32 v76, 0x39e9, v76
	v_bfi_b32 v60, 0xffff, v63, v64
	v_mul_f16_e32 v64, 0x2de8, v75
	v_mul_f16_e32 v69, 0xb8d2, v72
	;; [unrolled: 1-line block ×3, first 2 shown]
	v_add_f16_e32 v61, v31, v61
	v_fmamk_f16 v73, v46, 0x2de8, v70
	v_mul_f16_e32 v75, 0xba62, v80
	v_add_f16_e64 v58, v135, v58
	v_add_f16_e64 v71, v138, v71
	v_fma_f16 v135, 0x3b76, v74, v143
	v_mul_f16_e64 v138, 0xb1e1, v34
	v_fma_f16 v144, v47, 0xbacd, -v137
	v_mul_f16_e64 v145, 0x3b29, v78
	v_add_f16_e64 v126, v129, v126
	v_fma_f16 v129, v74, 0x3b76, -v143
	v_add_f16_e32 v119, v121, v119
	v_fma_f16 v121, v74, 0x2de8, -v125
	v_add_f16_e32 v102, v105, v102
	;; [unrolled: 2-line block ×3, first 2 shown]
	v_fma_f16 v90, v74, 0x3722, -v92
	v_fmamk_f16 v63, v41, 0x3964, v76
	v_add_f16_e32 v61, v73, v61
	v_fmamk_f16 v73, v45, 0xb8d2, v75
	v_mul_f16_e32 v77, 0xb1e1, v81
	v_fmac_f16_e32 v76, 0xb964, v41
	v_pk_add_f16 v21, v31, v21
	v_add_f16_e64 v71, v135, v71
	v_fma_f16 v135, 0xbbdd, v79, v138
	v_add_f16_e64 v144, v31, v144
	v_fma_f16 v147, v46, 0x3722, -v145
	v_add_f16_e64 v126, v129, v126
	v_fma_f16 v129, v79, 0xbbdd, -v138
	v_add_f16_e32 v119, v121, v119
	v_fma_f16 v121, v79, 0x39e9, -v128
	v_add_f16_e32 v102, v105, v102
	;; [unrolled: 2-line block ×4, first 2 shown]
	v_fmamk_f16 v68, v38, 0x3bf7, v64
	v_mul_f16_e32 v78, 0xb461, v79
	v_add_f16_e32 v61, v73, v61
	v_fmamk_f16 v73, v44, 0xbbdd, v77
	v_mul_f16_e32 v79, 0x3836, v83
	v_add_f16_e32 v51, v51, v76
	v_fmac_f16_e32 v64, 0xbbf7, v38
	v_pk_add_f16 v21, v21, v22
	v_add_f16_e64 v71, v135, v71
	v_add_f16_e64 v135, v147, v144
	v_mul_f16_e64 v147, 0x3a62, v81
	v_add_f16_e32 v63, v68, v63
	v_fmamk_f16 v68, v37, 0x3a62, v69
	v_add_f16_e32 v61, v73, v61
	v_fmamk_f16 v73, v43, 0xbacd, v79
	v_mul_f16_e32 v81, 0x3bb2, v84
	v_add_f16_e32 v51, v64, v51
	v_fmac_f16_e32 v69, 0xba62, v37
	v_pk_add_f16 v19, v21, v19
	v_add_f16_e32 v63, v68, v63
	v_fmamk_f16 v68, v36, 0x31e1, v72
	v_mul_f16_e32 v74, 0xbacd, v74
	v_bfi_b32 v53, 0xffff, v53, v55
	v_add_f16_e32 v55, v73, v61
	v_fmamk_f16 v61, v42, 0xb461, v81
	v_mul_f16_e32 v73, 0x3b29, v85
	v_add_f16_e32 v22, v69, v51
	v_fmac_f16_e32 v72, 0xb1e1, v36
	v_pk_add_f16 v19, v19, v20
	v_mul_f16_e64 v142, 0x3b29, v82
	v_mul_f16_e64 v138, 0xbbb2, v82
	v_add_f16_e32 v63, v68, v63
	v_fmamk_f16 v68, v35, 0xb836, v74
	v_add_f16_e32 v55, v61, v55
	v_fmamk_f16 v61, v40, 0x3722, v73
	v_mul_f16_e32 v82, 0x35c8, v82
	v_add_f16_e32 v22, v72, v22
	v_fmac_f16_e32 v74, 0x3836, v35
	v_pk_add_f16 v17, v19, v17
	v_mul_f16_e64 v148, 0xbbf7, v80
	v_add_f16_e32 v63, v68, v63
	v_fmamk_f16 v68, v34, 0xbbb2, v78
	v_mul_f16_e32 v80, 0x3722, v86
	v_add_f16_e32 v55, v61, v55
	v_fmamk_f16 v61, v39, 0x3b76, v82
	v_add_f16_e32 v22, v74, v22
	v_fmac_f16_e32 v78, 0x3bb2, v34
	v_pk_add_f16 v17, v17, v18
	v_add_f16_e32 v63, v68, v63
	v_fmamk_f16 v68, v33, 0xbb29, v80
	v_add_f16_e32 v55, v61, v55
	v_pk_mul_f16 v61, 0xb5c8, v41 op_sel_hi:[0,1]
	v_add_f16_e32 v22, v78, v22
	v_fmac_f16_e32 v80, 0x3b29, v33
	v_pk_add_f16 v15, v17, v15
	v_add_f16_e32 v63, v68, v63
	v_mul_f16_e32 v68, 0x3b76, v87
	v_pk_mul_f16 v51, 0xb964, v38 op_sel_hi:[0,1]
	v_add_f16_e32 v17, v80, v22
	v_pk_add_f16 v15, v15, v16
	v_pk_fma_f16 v16, 0x3b76, v47, v61 op_sel:[0,0,1] op_sel_hi:[0,1,0]
	v_pk_fma_f16 v22, 0x3b76, v47, v61 op_sel:[0,0,1] op_sel_hi:[0,1,0] neg_lo:[0,0,1] neg_hi:[0,0,1]
	v_fmamk_f16 v76, v32, 0xb5c8, v68
	v_pk_mul_f16 v64, 0xbb29, v37 op_sel_hi:[0,1]
	v_fmac_f16_e32 v68, 0x35c8, v32
	v_pk_add_f16 v13, v15, v13
	v_bfi_b32 v15, 0xffff, v16, v22
	v_pk_fma_f16 v61, 0x39e9, v46, v51 op_sel:[0,0,1] op_sel_hi:[0,1,0]
	v_pk_fma_f16 v51, 0x39e9, v46, v51 op_sel:[0,0,1] op_sel_hi:[0,1,0] neg_lo:[0,0,1] neg_hi:[0,0,1]
	v_pk_mul_f16 v21, 0xbbf7, v36 op_sel_hi:[0,1]
	v_add_f16_e32 v17, v68, v17
	v_pk_add_f16 v13, v13, v14
	v_pk_add_f16 v14, v31, v15
	v_bfi_b32 v15, 0xffff, v61, v51
	v_pk_fma_f16 v68, 0x3722, v45, v64 op_sel:[0,0,1] op_sel_hi:[0,1,0]
	v_pk_fma_f16 v64, 0x3722, v45, v64 op_sel:[0,0,1] op_sel_hi:[0,1,0] neg_lo:[0,0,1] neg_hi:[0,0,1]
	v_pk_add_f16 v11, v13, v11
	v_pk_mul_f16 v69, 0xbbb2, v35 op_sel_hi:[0,1]
	v_pk_add_f16 v13, v15, v14
	v_pk_fma_f16 v15, 0x2de8, v44, v21 op_sel:[0,0,1] op_sel_hi:[0,1,0]
	v_bfi_b32 v14, 0xffff, v68, v64
	v_pk_fma_f16 v21, 0x2de8, v44, v21 op_sel:[0,0,1] op_sel_hi:[0,1,0] neg_lo:[0,0,1] neg_hi:[0,0,1]
	v_pk_add_f16 v11, v11, v12
	v_fma_f16 v20, v47, 0x39e9, -v67
	v_pk_mul_f16 v67, 0xba62, v34 op_sel_hi:[0,1]
	v_pk_add_f16 v12, v14, v13
	v_bfi_b32 v13, 0xffff, v15, v21
	v_pk_fma_f16 v14, 0xb461, v43, v69 op_sel:[0,0,1] op_sel_hi:[0,1,0]
	v_pk_fma_f16 v69, 0xb461, v43, v69 op_sel:[0,0,1] op_sel_hi:[0,1,0] neg_lo:[0,0,1] neg_hi:[0,0,1]
	v_pk_add_f16 v9, v11, v9
	v_fmac_f16_e64 v137, 0xbacd, v47
	v_pk_add_f16 v11, v13, v12
	v_pk_add_f16 v13, v31, v57
	v_bfi_b32 v12, 0xffff, v14, v69
	v_pk_fma_f16 v57, 0xb8d2, v42, v67 op_sel:[0,0,1] op_sel_hi:[0,1,0]
	v_pk_fma_f16 v67, 0xb8d2, v42, v67 op_sel:[0,0,1] op_sel_hi:[0,1,0] neg_lo:[0,0,1] neg_hi:[0,0,1]
	v_pk_add_f16 v9, v9, v10
	v_pk_add_f16 v10, v59, v13
	v_fmac_f16_e32 v124, 0xb8d2, v47
	v_fmac_f16_e32 v109, 0xb461, v47
	;; [unrolled: 1-line block ×3, first 2 shown]
	v_add_f16_e32 v19, v31, v20
	v_fma_f16 v20, v46, 0x2de8, -v70
	v_pk_mul_f16 v70, 0xb836, v33 op_sel_hi:[0,1]
	v_pk_add_f16 v11, v12, v11
	v_bfi_b32 v12, 0xffff, v57, v67
	v_pk_add_f16 v10, v60, v10
	v_pk_mul_f16 v47, 0xbbdd, v47 op_sel_hi:[0,1]
	v_fmac_f16_e64 v145, 0x3722, v46
	v_fmac_f16_e32 v127, 0xb461, v46
	v_fmac_f16_e32 v111, 0xbacd, v46
	v_fmac_f16_e32 v96, 0xbbdd, v46
	v_add_f16_e32 v18, v20, v19
	v_pk_mul_f16 v20, 0xb1e1, v32 op_sel_hi:[0,1]
	v_pk_fma_f16 v13, 0xbacd, v40, v70 op_sel:[0,0,1] op_sel_hi:[0,1,0]
	v_pk_fma_f16 v59, 0xbacd, v40, v70 op_sel:[0,0,1] op_sel_hi:[0,1,0] neg_lo:[0,0,1] neg_hi:[0,0,1]
	v_pk_add_f16 v7, v9, v7
	v_pk_add_f16 v9, v12, v11
	;; [unrolled: 1-line block ×3, first 2 shown]
	v_pk_fma_f16 v12, 0xb1e1, v41, v47 op_sel:[0,0,1] op_sel_hi:[0,1,0]
	s_wait_alu 0xf1ff
	v_alignbit_b32 v60, s0, v31, 16
	v_pk_mul_f16 v46, 0x3b76, v46 op_sel_hi:[0,1]
	v_fma_f16 v144, v45, 0x2de8, -v148
	v_fmac_f16_e64 v148, 0x2de8, v45
	v_fmac_f16_e64 v130, 0x3b76, v45
	v_fmac_f16_e32 v113, 0x39e9, v45
	v_fmac_f16_e32 v98, 0xb461, v45
	v_fma_f16 v19, v45, 0xb8d2, -v75
	v_bfi_b32 v11, 0xffff, v13, v59
	v_pk_fma_f16 v62, 0xbbdd, v39, v20 op_sel:[0,0,1] op_sel_hi:[0,1,0]
	v_pk_fma_f16 v20, 0xbbdd, v39, v20 op_sel:[0,0,1] op_sel_hi:[0,1,0] neg_lo:[0,0,1] neg_hi:[0,0,1]
	v_pk_add_f16 v10, v65, v10
	v_pk_add_f16 v60, v60, v12
	v_pk_fma_f16 v65, 0x35c8, v38, v46 op_sel:[0,0,1] op_sel_hi:[0,1,0]
	v_pk_mul_f16 v45, 0xbacd, v45 op_sel_hi:[0,1]
	v_pk_fma_f16 v41, 0xb1e1, v41, v47 op_sel:[0,0,1] op_sel_hi:[0,1,0] neg_lo:[0,1,0] neg_hi:[0,1,0]
	v_alignbit_b32 v12, s0, v12, 16
	v_add_f16_e32 v109, v31, v109
	v_add_f16_e32 v95, v31, v95
	v_add_f16_e64 v137, v31, v137
	v_add_f16_e32 v124, v31, v124
	v_add_f16_e64 v135, v144, v135
	v_fma_f16 v144, v44, 0xb8d2, -v147
	v_mul_f16_e64 v151, 0xb5c8, v83
	v_fmac_f16_e64 v147, 0xb8d2, v44
	v_fmac_f16_e64 v132, 0xbacd, v44
	v_fmac_f16_e32 v115, 0x3722, v44
	v_fmac_f16_e32 v99, 0x3b76, v44
	v_add_f16_e32 v18, v19, v18
	v_fma_f16 v19, v44, 0xbbdd, -v77
	v_pk_add_f16 v9, v11, v9
	v_bfi_b32 v11, 0xffff, v62, v20
	v_pk_add_f16 v10, v66, v10
	v_pk_add_f16 v60, v65, v60
	v_pk_fma_f16 v66, 0xb836, v37, v45 op_sel:[0,0,1] op_sel_hi:[0,1,0]
	v_pk_mul_f16 v44, 0x39e9, v44 op_sel_hi:[0,1]
	v_pk_add_f16 v41, v31, v41 op_sel:[1,0] op_sel_hi:[0,1]
	v_pk_fma_f16 v38, 0x35c8, v38, v46 op_sel:[0,0,1] op_sel_hi:[0,1,0] neg_lo:[0,1,0] neg_hi:[0,1,0]
	v_pk_add_f16 v12, v31, v12
	v_alignbit_b32 v46, s0, v65, 16
	v_add_f16_e32 v109, v111, v109
	v_add_f16_e32 v93, v96, v95
	v_add_f16_e64 v137, v145, v137
	v_add_f16_e32 v124, v127, v124
	v_fma_f16 v146, v39, 0x3722, -v142
	v_add_f16_e64 v135, v144, v135
	v_fma_f16 v144, v43, 0x3b76, -v151
	v_mul_f16_e64 v139, 0xb1e1, v84
	v_fmac_f16_e64 v151, 0x3b76, v43
	v_fmac_f16_e64 v133, 0x2de8, v43
	v_fmac_f16_e32 v116, 0xbbdd, v43
	v_fmac_f16_e32 v100, 0x3722, v43
	v_add_f16_e32 v18, v19, v18
	v_fma_f16 v19, v43, 0xbacd, -v79
	v_pk_add_f16 v7, v7, v8
	v_pk_add_f16 v8, v56, v10
	;; [unrolled: 1-line block ×4, first 2 shown]
	v_pk_fma_f16 v11, 0x3964, v36, v44 op_sel:[0,0,1] op_sel_hi:[0,1,0]
	v_pk_mul_f16 v43, 0xb8d2, v43 op_sel_hi:[0,1]
	v_pk_add_f16 v38, v38, v41
	v_pk_add_f16 v12, v46, v12
	v_alignbit_b32 v41, s0, v66, 16
	v_add_f16_e32 v95, v113, v109
	v_add_f16_e32 v91, v98, v93
	v_add_f16_e64 v137, v148, v137
	v_add_f16_e32 v106, v121, v119
	v_add_f16_e64 v119, v130, v124
	v_add_f16_e64 v58, v146, v58
	v_mul_f16_e64 v146, 0x3964, v33
	v_add_f16_e64 v135, v144, v135
	v_fma_f16 v141, v42, 0xbbdd, -v139
	v_mul_f16_e64 v144, 0x3964, v85
	v_fmac_f16_e64 v139, 0xbbdd, v42
	v_fmac_f16_e64 v136, 0x39e9, v42
	v_fmac_f16_e32 v118, 0x2de8, v42
	v_fmac_f16_e32 v101, 0xbacd, v42
	v_add_f16_e32 v18, v19, v18
	v_fma_f16 v19, v42, 0xb461, -v81
	v_pk_add_f16 v10, v11, v10
	v_pk_fma_f16 v56, 0xba62, v35, v43 op_sel:[0,0,1] op_sel_hi:[0,1,0]
	v_pk_mul_f16 v42, 0x3722, v42 op_sel_hi:[0,1]
	v_pk_add_f16 v12, v41, v12
	v_alignbit_b32 v11, s0, v11, 16
	v_bfi_b32 v16, 0xffff, v22, v16
	v_pk_fma_f16 v37, 0xb836, v37, v45 op_sel:[0,0,1] op_sel_hi:[0,1,0] neg_lo:[0,1,0] neg_hi:[0,1,0]
	v_add_f16_e32 v93, v115, v95
	v_add_f16_e32 v91, v99, v91
	v_add_f16_e64 v137, v147, v137
	v_add_f16_e64 v108, v132, v119
	;; [unrolled: 1-line block ×3, first 2 shown]
	v_fma_f16 v141, v40, 0x39e9, -v144
	v_add_f16_e64 v126, v129, v126
	v_fma_f16 v129, v86, 0x39e9, -v146
	v_fmac_f16_e64 v144, 0x39e9, v40
	v_fmac_f16_e64 v140, 0xbbdd, v40
	v_fmac_f16_e32 v120, 0x3b76, v40
	v_fmac_f16_e32 v103, 0xb8d2, v40
	v_add_f16_e32 v18, v19, v18
	v_fma_f16 v19, v40, 0x3722, -v73
	v_pk_fma_f16 v47, 0x3b29, v34, v42 op_sel:[0,0,1] op_sel_hi:[0,1,0]
	v_pk_mul_f16 v40, 0xb461, v40 op_sel_hi:[0,1]
	v_pk_add_f16 v11, v11, v12
	v_alignbit_b32 v12, s0, v56, 16
	v_pk_add_f16 v16, v31, v16
	v_bfi_b32 v31, 0xffff, v51, v61
	v_pk_add_f16 v37, v37, v38
	v_pk_fma_f16 v36, 0x3964, v36, v44 op_sel:[0,0,1] op_sel_hi:[0,1,0] neg_lo:[0,1,0] neg_hi:[0,1,0]
	v_add_f16_e32 v92, v116, v93
	v_add_f16_e32 v91, v100, v91
	v_add_f16_e64 v122, v151, v137
	v_add_f16_e64 v108, v133, v108
	;; [unrolled: 1-line block ×3, first 2 shown]
	v_fma_f16 v129, v39, 0xb461, -v138
	v_fmac_f16_e64 v138, 0xb461, v39
	v_fmac_f16_e64 v142, 0x3722, v39
	v_fmac_f16_e32 v123, 0xb8d2, v39
	v_fmac_f16_e32 v107, 0x39e9, v39
	v_add_f16_e32 v18, v19, v18
	v_fma_f16 v19, v39, 0x3b76, -v82
	v_pk_fma_f16 v65, 0xbbb2, v33, v40 op_sel:[0,0,1] op_sel_hi:[0,1,0]
	v_pk_mul_f16 v39, 0x2de8, v39 op_sel_hi:[0,1]
	v_pk_add_f16 v11, v12, v11
	v_alignbit_b32 v12, s0, v47, 16
	v_pk_add_f16 v16, v31, v16
	v_bfi_b32 v31, 0xffff, v64, v68
	v_pk_add_f16 v22, v36, v37
	v_pk_fma_f16 v35, 0xba62, v35, v43 op_sel:[0,0,1] op_sel_hi:[0,1,0] neg_lo:[0,1,0] neg_hi:[0,1,0]
	v_add_f16_e32 v102, v105, v102
	v_fma_f16 v105, v86, 0x3b76, -v114
	v_add_f16_e32 v92, v118, v92
	v_add_f16_e32 v89, v90, v89
	v_fma_f16 v90, v86, 0xb8d2, -v97
	v_add_f16_e32 v91, v101, v91
	v_mul_f16_e64 v150, 0xbbb2, v32
	v_add_f16_e64 v122, v139, v122
	v_fma_f16 v121, v86, 0xbbdd, -v131
	v_add_f16_e64 v108, v136, v108
	v_pk_fma_f16 v38, 0x3bf7, v32, v39 op_sel:[0,0,1] op_sel_hi:[0,1,0]
	v_pk_add_f16 v11, v12, v11
	v_alignbit_b32 v12, s0, v65, 16
	v_pk_add_f16 v16, v31, v16
	v_bfi_b32 v15, 0xffff, v21, v15
	v_pk_add_f16 v10, v56, v10
	v_pk_add_f16 v22, v35, v22
	v_pk_fma_f16 v34, 0x3b29, v34, v42 op_sel:[0,0,1] op_sel_hi:[0,1,0] neg_lo:[0,1,0] neg_hi:[0,1,0]
	v_add_f16_e32 v94, v105, v102
	v_add_f16_e32 v92, v120, v92
	;; [unrolled: 1-line block ×4, first 2 shown]
	v_fma_f16 v91, v87, 0xb8d2, -v117
	v_fma_f16 v95, v87, 0x39e9, -v104
	;; [unrolled: 1-line block ×3, first 2 shown]
	v_add_f16_e64 v122, v144, v122
	v_add_f16_e32 v106, v121, v106
	v_fma_f16 v110, v87, 0x3722, -v134
	v_add_f16_e64 v93, v140, v108
	v_add_f16_e32 v18, v19, v18
	v_mul_u32_u24_e32 v19, 0x44, v3
	v_pk_add_f16 v11, v12, v11
	v_alignbit_b32 v12, s0, v38, 16
	v_pk_add_f16 v15, v15, v16
	v_bfi_b32 v14, 0xffff, v69, v14
	v_add_f16_e32 v63, v76, v63
	v_pk_add_f16 v10, v47, v10
	v_pk_add_f16 v22, v34, v22
	v_pk_fma_f16 v33, 0xbbb2, v33, v40 op_sel:[0,0,1] op_sel_hi:[0,1,0] neg_lo:[0,1,0] neg_hi:[0,1,0]
	v_fma_f16 v149, 0x39e9, v86, v146
	v_add_f16_e32 v91, v91, v94
	v_add_f16_e32 v92, v123, v92
	;; [unrolled: 1-line block ×4, first 2 shown]
	v_add_f16_e64 v126, v137, v126
	v_add_f16_e64 v119, v138, v122
	v_add_f16_e32 v106, v110, v106
	v_add_f16_e64 v93, v142, v93
	v_add3_u32 v19, 0, v19, v24
	v_pk_add_f16 v11, v12, v11
	v_pk_add_f16 v12, v14, v15
	v_bfi_b32 v14, 0xffff, v67, v57
	v_pk_add_f16 v8, v53, v8
	v_pack_b32_f16 v53, v55, v63
	v_pk_add_f16 v10, v65, v10
	v_pk_add_f16 v21, v33, v22
	v_pk_fma_f16 v22, 0x3bf7, v32, v39 op_sel:[0,0,1] op_sel_hi:[0,1,0] neg_lo:[0,1,0] neg_hi:[0,1,0]
	v_add_f16_e64 v71, v149, v71
	v_fma_f16 v149, 0xb461, v87, v150
	v_add_f16_e64 v135, v141, v135
	v_pack_b32_f16 v55, v92, v91
	v_pack_b32_f16 v60, v90, v89
	;; [unrolled: 1-line block ×4, first 2 shown]
	ds_store_2addr_b32 v19, v7, v9 offset1:1
	ds_store_2addr_b32 v19, v53, v8 offset0:2 offset1:3
	ds_store_2addr_b32 v19, v60, v55 offset0:4 offset1:5
	;; [unrolled: 1-line block ×3, first 2 shown]
	v_pk_add_f16 v7, v14, v12
	v_bfi_b32 v8, 0xffff, v59, v13
	v_pk_add_f16 v10, v38, v10
	v_pk_add_f16 v21, v22, v21
	v_add_f16_e64 v71, v149, v71
	v_add_f16_e64 v88, v129, v135
	v_pk_add_f16 v7, v8, v7
	v_bfi_b32 v8, 0xffff, v20, v62
	v_alignbit_b32 v9, v10, v21, 16
	v_pack_b32_f16 v10, v11, v21
	v_pack_b32_f16 v11, v58, v54
	;; [unrolled: 1-line block ×6, first 2 shown]
	v_perm_b32 v16, v26, v25, 0x5040100
	v_pk_add_f16 v7, v8, v7
	ds_store_2addr_b32 v19, v10, v9 offset0:8 offset1:9
	ds_store_2addr_b32 v19, v12, v11 offset0:10 offset1:11
	;; [unrolled: 1-line block ×4, first 2 shown]
	ds_store_b32 v19, v7 offset:64
.LBB0_20:
	s_wait_alu 0xfffe
	s_or_b32 exec_lo, exec_lo, s1
	v_add_nc_u16 v31, v3, 0x55
	v_and_b32_e32 v10, 0xff, v3
	v_add_nc_u32_e32 v9, 0x1a9, v3
	v_add_nc_u32_e32 v12, 0x1fe, v3
	;; [unrolled: 1-line block ×3, first 2 shown]
	v_and_b32_e32 v11, 0xff, v31
	v_mul_lo_u16 v33, 0xf1, v10
	v_add_nc_u32_e32 v7, 0xff, v3
	v_and_b32_e32 v14, 0xffff, v9
	v_and_b32_e32 v17, 0xffff, v12
	v_mul_lo_u16 v32, 0xf1, v11
	v_lshrrev_b16 v10, 12, v33
	v_add_nc_u16 v19, v3, 0xaa
	v_and_b32_e32 v18, 0xffff, v8
	v_and_b32_e32 v13, 0xffff, v7
	v_lshrrev_b16 v21, 12, v32
	v_mul_lo_u16 v15, v10, 17
	v_mul_u32_u24_e32 v14, 0xf0f1, v14
	v_mul_u32_u24_e32 v17, 0xf0f1, v17
	v_and_b32_e32 v11, 0xff, v19
	v_mul_lo_u16 v16, v21, 17
	v_mul_u32_u24_e32 v18, 0xf0f1, v18
	v_sub_nc_u16 v15, v3, v15
	v_lshrrev_b32_e32 v22, 20, v14
	v_lshrrev_b32_e32 v35, 20, v17
	v_sub_nc_u16 v16, v31, v16
	v_mul_u32_u24_e32 v13, 0xf0f1, v13
	v_mul_lo_u16 v20, 0xf1, v11
	v_lshrrev_b32_e32 v36, 20, v18
	v_and_b32_e32 v14, 0xff, v15
	v_and_b32_e32 v15, 0xff, v16
	v_mul_lo_u16 v11, v22, 17
	v_mul_lo_u16 v16, v35, 17
	v_lshrrev_b32_e32 v37, 20, v13
	v_lshrrev_b16 v38, 12, v20
	v_mul_lo_u16 v13, v36, 17
	v_sub_nc_u16 v9, v9, v11
	v_sub_nc_u16 v11, v12, v16
	v_mul_lo_u16 v12, v37, 17
	v_mul_lo_u16 v16, v38, 17
	v_sub_nc_u16 v8, v8, v13
	v_and_b32_e32 v9, 0xffff, v9
	v_and_b32_e32 v11, 0xffff, v11
	v_sub_nc_u16 v7, v7, v12
	v_sub_nc_u16 v12, v19, v16
	v_and_b32_e32 v8, 0xffff, v8
	v_lshlrev_b32_e32 v39, 2, v9
	v_lshlrev_b32_e32 v40, 2, v11
	v_and_b32_e32 v7, 0xffff, v7
	v_and_b32_e32 v9, 0xff, v12
	v_lshlrev_b32_e32 v41, 2, v8
	v_lshlrev_b32_e32 v46, 2, v15
	v_lshlrev_b32_e32 v47, 2, v14
	v_lshlrev_b32_e32 v44, 2, v7
	v_lshlrev_b32_e32 v45, 2, v9
	global_wb scope:SCOPE_SE
	s_wait_dscnt 0x0
	s_barrier_signal -1
	s_barrier_wait -1
	global_inv scope:SCOPE_SE
	s_clause 0x6
	global_load_b32 v42, v39, s[8:9]
	global_load_b32 v43, v40, s[8:9]
	;; [unrolled: 1-line block ×7, first 2 shown]
	v_add_nc_u32_e32 v34, 0xa00, v4
	ds_load_2addr_b32 v[7:8], v29 offset0:83 offset1:168
	ds_load_2addr_b32 v[11:12], v4 offset0:85 offset1:170
	;; [unrolled: 1-line block ×4, first 2 shown]
	ds_load_b32 v30, v23
	ds_load_b32 v53, v4 offset:4420
	v_and_b32_e32 v54, 0xffff, v10
	ds_load_2addr_b32 v[9:10], v27 offset0:167 offset1:252
	ds_load_2addr_b32 v[17:18], v34 offset0:125 offset1:210
	v_and_b32_e32 v38, 0xffff, v38
	v_and_b32_e32 v21, 0xffff, v21
	v_mad_u32_u24 v22, 0x88, v22, 0
	v_mad_u32_u24 v54, 0x88, v54, 0
	;; [unrolled: 1-line block ×7, first 2 shown]
	v_add3_u32 v47, v54, v47, v24
	v_add3_u32 v38, v38, v45, v24
	;; [unrolled: 1-line block ×7, first 2 shown]
	global_wb scope:SCOPE_SE
	s_wait_loadcnt_dscnt 0x0
	s_barrier_signal -1
	s_barrier_wait -1
	global_inv scope:SCOPE_SE
	v_cmp_gt_u32_e64 s0, 0x44, v3
	v_pk_mul_f16 v41, v9, v48 op_sel:[0,1]
	v_pk_mul_f16 v44, v49, v18 op_sel:[0,1]
	v_pk_mul_f16 v40, v10, v42 op_sel:[0,1]
	v_pk_mul_f16 v39, v53, v43 op_sel:[0,1]
	v_pk_mul_f16 v45, v50, v17 op_sel:[0,1]
	v_pk_mul_f16 v54, v52, v7 op_sel:[0,1]
	v_pk_mul_f16 v46, v51, v8 op_sel:[0,1]
	s_delay_alu instid0(VALU_DEP_4)
	v_pk_fma_f16 v55, v53, v43, v39 op_sel:[0,0,1] op_sel_hi:[1,1,0]
	v_pk_fma_f16 v39, v53, v43, v39 op_sel:[0,0,1] op_sel_hi:[1,0,0] neg_lo:[0,0,1] neg_hi:[0,0,1]
	v_pk_fma_f16 v43, v10, v42, v40 op_sel:[0,0,1] op_sel_hi:[1,1,0]
	v_pk_fma_f16 v10, v10, v42, v40 op_sel:[0,0,1] op_sel_hi:[1,0,0] neg_lo:[0,0,1] neg_hi:[0,0,1]
	;; [unrolled: 2-line block ×7, first 2 shown]
	v_bfi_b32 v43, 0xffff, v43, v10
	v_bfi_b32 v7, 0xffff, v45, v7
	;; [unrolled: 1-line block ×7, first 2 shown]
	v_pk_add_f16 v8, v15, v43 neg_lo:[0,1] neg_hi:[0,1]
	v_pk_add_f16 v41, v30, v7 neg_lo:[0,1] neg_hi:[0,1]
	;; [unrolled: 1-line block ×7, first 2 shown]
	v_pk_fma_f16 v7, v15, 2.0, v8 op_sel_hi:[1,0,1] neg_lo:[0,0,1] neg_hi:[0,0,1]
	v_pk_fma_f16 v15, v30, 2.0, v41 op_sel_hi:[1,0,1] neg_lo:[0,0,1] neg_hi:[0,0,1]
	;; [unrolled: 1-line block ×7, first 2 shown]
	ds_store_2addr_b32 v47, v15, v41 offset1:17
	ds_store_2addr_b32 v21, v11, v40 offset1:17
	;; [unrolled: 1-line block ×7, first 2 shown]
	global_wb scope:SCOPE_SE
	s_wait_dscnt 0x0
	s_barrier_signal -1
	s_barrier_wait -1
	global_inv scope:SCOPE_SE
	ds_load_2addr_b32 v[11:12], v4 offset0:85 offset1:238
	ds_load_2addr_b32 v[17:18], v28 offset0:67 offset1:220
	;; [unrolled: 1-line block ×4, first 2 shown]
	ds_load_b32 v29, v23
	ds_load_b32 v30, v4 offset:4148
	v_lshrrev_b32_e32 v22, 16, v9
	v_lshrrev_b32_e32 v27, 16, v10
	;; [unrolled: 1-line block ×4, first 2 shown]
	s_and_saveexec_b32 s1, s0
	s_cbranch_execz .LBB0_22
; %bb.21:
	v_add_nc_u32_e32 v7, 0x280, v4
	ds_load_2addr_b32 v[9:10], v34 offset0:6 offset1:244
	ds_load_2addr_b32 v[7:8], v7 offset0:10 offset1:248
	ds_load_b32 v25, v4 offset:4488
	s_wait_dscnt 0x2
	v_lshrrev_b32_e32 v22, 16, v9
	v_lshrrev_b32_e32 v27, 16, v10
	s_wait_dscnt 0x1
	v_lshrrev_b32_e32 v21, 16, v7
	v_lshrrev_b32_e32 v28, 16, v8
	s_wait_dscnt 0x0
	v_lshrrev_b32_e32 v26, 16, v25
.LBB0_22:
	s_wait_alu 0xfffe
	s_or_b32 exec_lo, exec_lo, s1
	v_lshrrev_b16 v39, 13, v33
	v_lshrrev_b16 v40, 13, v32
	s_wait_dscnt 0x5
	v_lshrrev_b32_e32 v45, 16, v12
	s_wait_dscnt 0x4
	v_lshrrev_b32_e32 v46, 16, v18
	;; [unrolled: 2-line block ×3, first 2 shown]
	v_mul_lo_u16 v32, v39, 34
	v_mul_lo_u16 v33, v40, 34
	v_and_b32_e32 v39, 0xffff, v39
	v_and_b32_e32 v40, 0xffff, v40
	s_wait_dscnt 0x2
	v_lshrrev_b32_e32 v48, 16, v14
	v_sub_nc_u16 v32, v3, v32
	v_sub_nc_u16 v31, v31, v33
	v_mad_u32_u24 v39, 0x2a8, v39, 0
	v_mad_u32_u24 v40, 0x2a8, v40, 0
	v_lshrrev_b32_e32 v49, 16, v17
	v_and_b32_e32 v41, 0xff, v32
	v_and_b32_e32 v42, 0xff, v31
	v_lshrrev_b32_e32 v50, 16, v15
	v_lshrrev_b32_e32 v51, 16, v13
	s_wait_dscnt 0x0
	v_lshrrev_b32_e32 v52, 16, v30
	v_lshlrev_b32_e32 v31, 4, v41
	v_lshlrev_b32_e32 v35, 4, v42
	v_lshlrev_b32_e32 v41, 2, v41
	v_lshlrev_b32_e32 v42, 2, v42
	v_lshrrev_b32_e32 v43, 16, v29
	s_clause 0x1
	global_load_b128 v[31:34], v31, s[8:9] offset:68
	global_load_b128 v[35:38], v35, s[8:9] offset:68
	v_lshrrev_b32_e32 v44, 16, v11
	v_add3_u32 v39, v39, v41, v24
	v_add3_u32 v40, v40, v42, v24
	global_wb scope:SCOPE_SE
	s_wait_loadcnt 0x0
	s_barrier_signal -1
	s_barrier_wait -1
	global_inv scope:SCOPE_SE
	v_lshrrev_b32_e32 v41, 16, v31
	v_lshrrev_b32_e32 v42, 16, v32
	;; [unrolled: 1-line block ×8, first 2 shown]
	v_mul_f16_e32 v59, v41, v45
	v_mul_f16_e32 v41, v41, v12
	;; [unrolled: 1-line block ×16, first 2 shown]
	v_fmac_f16_e32 v59, v31, v12
	v_fma_f16 v12, v31, v45, -v41
	v_fmac_f16_e32 v60, v32, v18
	v_fma_f16 v18, v32, v46, -v42
	;; [unrolled: 2-line block ×8, first 2 shown]
	v_add_f16_e32 v32, v60, v61
	v_add_f16_e32 v37, v59, v62
	;; [unrolled: 1-line block ×5, first 2 shown]
	v_sub_f16_e32 v35, v59, v60
	v_sub_f16_e32 v36, v62, v61
	;; [unrolled: 1-line block ×6, first 2 shown]
	v_add_f16_e32 v53, v64, v65
	v_add_f16_e32 v68, v44, v17
	;; [unrolled: 1-line block ×6, first 2 shown]
	v_sub_f16_e32 v33, v12, v14
	v_sub_f16_e32 v34, v18, v16
	;; [unrolled: 1-line block ×5, first 2 shown]
	v_fma_f16 v32, -0.5, v32, v29
	v_fmac_f16_e32 v29, -0.5, v37
	v_add_f16_e32 v18, v42, v18
	v_fma_f16 v37, -0.5, v45, v43
	v_sub_f16_e32 v47, v60, v61
	v_add_f16_e32 v52, v11, v63
	v_fmac_f16_e32 v43, -0.5, v50
	v_sub_f16_e32 v54, v17, v30
	v_sub_f16_e32 v55, v15, v13
	;; [unrolled: 1-line block ×8, first 2 shown]
	v_add_f16_e32 v35, v35, v36
	v_add_f16_e32 v36, v38, v41
	;; [unrolled: 1-line block ×3, first 2 shown]
	v_fma_f16 v42, -0.5, v53, v11
	v_add_f16_e32 v15, v68, v15
	v_fma_f16 v49, -0.5, v69, v44
	v_sub_f16_e32 v70, v64, v65
	v_fmac_f16_e32 v11, -0.5, v58
	v_fmac_f16_e32 v44, -0.5, v73
	v_add_f16_e32 v31, v31, v60
	v_add_f16_e32 v12, v12, v51
	v_fmamk_f16 v51, v33, 0xbb9c, v32
	v_add_f16_e32 v16, v18, v16
	v_fmamk_f16 v18, v46, 0x3b9c, v37
	;; [unrolled: 2-line block ×3, first 2 shown]
	v_fmac_f16_e32 v29, 0xbb9c, v34
	v_fmamk_f16 v53, v47, 0xbb9c, v43
	v_fmac_f16_e32 v43, 0x3b9c, v47
	v_fmac_f16_e32 v32, 0x3b9c, v33
	;; [unrolled: 1-line block ×3, first 2 shown]
	v_sub_f16_e32 v72, v30, v13
	v_sub_f16_e32 v74, v13, v30
	v_add_f16_e32 v45, v56, v57
	v_fmamk_f16 v56, v54, 0xbb9c, v42
	v_add_f16_e32 v13, v15, v13
	v_fmamk_f16 v15, v63, 0x3b9c, v49
	v_sub_f16_e32 v67, v65, v66
	v_fmamk_f16 v57, v55, 0x3b9c, v11
	v_fmac_f16_e32 v11, 0xbb9c, v55
	v_fmamk_f16 v58, v70, 0xbb9c, v44
	v_fmac_f16_e32 v44, 0x3b9c, v70
	v_add_f16_e32 v31, v31, v61
	v_fmac_f16_e32 v42, 0x3b9c, v54
	v_fmac_f16_e32 v49, 0xbb9c, v63
	;; [unrolled: 1-line block ×4, first 2 shown]
	v_add_f16_e32 v41, v41, v65
	v_fmac_f16_e32 v52, 0xb8b4, v33
	v_fmac_f16_e32 v29, 0x38b4, v33
	v_fmac_f16_e32 v53, 0x38b4, v46
	v_fmac_f16_e32 v43, 0xb8b4, v46
	v_fmac_f16_e32 v32, 0x38b4, v34
	v_fmac_f16_e32 v37, 0xb8b4, v47
	v_add_f16_e32 v50, v71, v72
	v_fmac_f16_e32 v56, 0xb8b4, v55
	v_fmac_f16_e32 v15, 0x38b4, v70
	v_add_f16_e32 v48, v59, v67
	v_add_f16_e32 v17, v17, v74
	v_fmac_f16_e32 v57, 0xb8b4, v54
	v_fmac_f16_e32 v11, 0x38b4, v54
	v_fmac_f16_e32 v58, 0x38b4, v63
	v_fmac_f16_e32 v44, 0xb8b4, v63
	v_add_f16_e32 v31, v31, v62
	v_add_f16_e32 v14, v16, v14
	v_fmac_f16_e32 v42, 0x38b4, v55
	v_fmac_f16_e32 v49, 0xb8b4, v70
	;; [unrolled: 6-line block ×3, first 2 shown]
	v_fmac_f16_e32 v53, 0x34f2, v12
	v_fmac_f16_e32 v43, 0x34f2, v12
	;; [unrolled: 1-line block ×12, first 2 shown]
	v_pack_b32_f16 v12, v31, v14
	v_pack_b32_f16 v14, v51, v18
	;; [unrolled: 1-line block ×10, first 2 shown]
	ds_store_2addr_b32 v39, v12, v14 offset1:34
	ds_store_2addr_b32 v39, v16, v17 offset0:68 offset1:102
	ds_store_b32 v39, v18 offset:544
	ds_store_2addr_b32 v40, v13, v15 offset1:34
	ds_store_2addr_b32 v40, v29, v11 offset0:68 offset1:102
	ds_store_b32 v40, v30 offset:544
	s_and_saveexec_b32 s1, s0
	s_cbranch_execz .LBB0_24
; %bb.23:
	v_lshrrev_b16 v15, 13, v20
	s_delay_alu instid0(VALU_DEP_1) | instskip(SKIP_1) | instid1(VALU_DEP_2)
	v_mul_lo_u16 v11, v15, 34
	v_and_b32_e32 v15, 0xffff, v15
	v_sub_nc_u16 v11, v19, v11
	s_delay_alu instid0(VALU_DEP_2) | instskip(NEXT) | instid1(VALU_DEP_2)
	v_mad_u32_u24 v15, 0x2a8, v15, 0
	v_and_b32_e32 v16, 0xff, v11
	s_delay_alu instid0(VALU_DEP_1)
	v_lshlrev_b32_e32 v11, 4, v16
	v_lshlrev_b32_e32 v16, 2, v16
	global_load_b128 v[11:14], v11, s[8:9] offset:68
	v_add3_u32 v15, v15, v16, v24
	s_wait_loadcnt 0x0
	v_lshrrev_b32_e32 v17, 16, v12
	v_lshrrev_b32_e32 v18, 16, v11
	;; [unrolled: 1-line block ×4, first 2 shown]
	s_delay_alu instid0(VALU_DEP_4) | instskip(NEXT) | instid1(VALU_DEP_4)
	v_mul_f16_e32 v16, v9, v17
	v_mul_f16_e32 v24, v8, v18
	s_delay_alu instid0(VALU_DEP_4) | instskip(NEXT) | instid1(VALU_DEP_4)
	v_mul_f16_e32 v29, v10, v19
	v_mul_f16_e32 v30, v25, v20
	v_mul_f16_e32 v17, v22, v17
	v_mul_f16_e32 v19, v27, v19
	v_mul_f16_e32 v18, v28, v18
	v_mul_f16_e32 v20, v26, v20
	v_fma_f16 v16, v22, v12, -v16
	v_fma_f16 v22, v28, v11, -v24
	;; [unrolled: 1-line block ×4, first 2 shown]
	v_fmac_f16_e32 v17, v9, v12
	v_fmac_f16_e32 v19, v10, v13
	v_fmac_f16_e32 v18, v8, v11
	v_fmac_f16_e32 v20, v25, v14
	v_sub_f16_e32 v8, v16, v22
	v_sub_f16_e32 v9, v24, v26
	v_add_f16_e32 v11, v22, v26
	v_sub_f16_e32 v13, v17, v18
	v_sub_f16_e32 v14, v19, v20
	v_add_f16_e32 v27, v18, v20
	v_add_f16_e32 v31, v16, v24
	;; [unrolled: 1-line block ×3, first 2 shown]
	v_sub_f16_e32 v12, v18, v20
	v_sub_f16_e32 v25, v22, v26
	;; [unrolled: 1-line block ×5, first 2 shown]
	v_add_f16_e32 v22, v21, v22
	v_add_f16_e32 v18, v7, v18
	;; [unrolled: 1-line block ×3, first 2 shown]
	v_fma_f16 v9, -0.5, v11, v21
	v_add_f16_e32 v11, v13, v14
	v_fma_f16 v13, -0.5, v27, v7
	v_fma_f16 v21, -0.5, v31, v21
	;; [unrolled: 1-line block ×3, first 2 shown]
	v_sub_f16_e32 v10, v17, v19
	v_sub_f16_e32 v28, v16, v24
	;; [unrolled: 1-line block ×3, first 2 shown]
	v_add_f16_e32 v14, v29, v30
	v_add_f16_e32 v16, v22, v16
	;; [unrolled: 1-line block ×3, first 2 shown]
	v_fmamk_f16 v29, v12, 0x3b9c, v21
	v_fmamk_f16 v30, v25, 0xbb9c, v7
	;; [unrolled: 1-line block ×4, first 2 shown]
	v_fmac_f16_e32 v9, 0xbb9c, v10
	v_fmac_f16_e32 v13, 0x3b9c, v28
	;; [unrolled: 1-line block ×4, first 2 shown]
	v_add_f16_e32 v27, v32, v33
	v_add_f16_e32 v16, v16, v24
	;; [unrolled: 1-line block ×3, first 2 shown]
	v_fmac_f16_e32 v29, 0x38b4, v10
	v_fmac_f16_e32 v30, 0xb8b4, v28
	;; [unrolled: 1-line block ×8, first 2 shown]
	v_add_f16_e32 v12, v16, v26
	v_add_f16_e32 v16, v17, v20
	v_fmac_f16_e32 v29, 0x34f2, v14
	v_fmac_f16_e32 v30, 0x34f2, v27
	;; [unrolled: 1-line block ×8, first 2 shown]
	v_pack_b32_f16 v8, v16, v12
	v_pack_b32_f16 v10, v30, v29
	;; [unrolled: 1-line block ×5, first 2 shown]
	ds_store_2addr_b32 v15, v8, v10 offset1:34
	ds_store_2addr_b32 v15, v9, v11 offset0:68 offset1:102
	ds_store_b32 v15, v7 offset:544
.LBB0_24:
	s_wait_alu 0xfffe
	s_or_b32 exec_lo, exec_lo, s1
	v_mul_u32_u24_e32 v7, 6, v3
	global_wb scope:SCOPE_SE
	s_wait_dscnt 0x0
	s_barrier_signal -1
	s_barrier_wait -1
	global_inv scope:SCOPE_SE
	v_lshlrev_b32_e32 v17, 2, v7
	v_add_nc_u32_e32 v32, 0xc00, v4
	v_add_nc_u32_e32 v31, 0x200, v4
	;; [unrolled: 1-line block ×4, first 2 shown]
	s_clause 0x3
	global_load_b128 v[7:10], v17, s[8:9] offset:612
	global_load_b64 v[15:16], v17, s[8:9] offset:628
	global_load_b128 v[11:14], v17, s[8:9] offset:2652
	global_load_b64 v[17:18], v17, s[8:9] offset:2668
	v_add_nc_u32_e32 v29, 0xa00, v4
	ds_load_2addr_b32 v[19:20], v4 offset0:85 offset1:170
	ds_load_b32 v33, v23
	ds_load_b32 v34, v4 offset:4420
	ds_load_2addr_b32 v[21:22], v32 offset0:167 offset1:252
	ds_load_2addr_b32 v[23:24], v31 offset0:127 offset1:212
	;; [unrolled: 1-line block ×5, first 2 shown]
	v_add_nc_u32_e32 v36, 0x700, v4
	v_add_nc_u32_e32 v37, 0x300, v4
	;; [unrolled: 1-line block ×3, first 2 shown]
	global_wb scope:SCOPE_SE
	s_wait_loadcnt_dscnt 0x0
	s_barrier_signal -1
	s_barrier_wait -1
	global_inv scope:SCOPE_SE
	v_lshrrev_b32_e32 v43, 16, v22
	v_lshrrev_b32_e32 v49, 16, v24
	;; [unrolled: 1-line block ×26, first 2 shown]
	v_mul_f16_e32 v65, v53, v40
	v_mul_f16_e32 v53, v53, v20
	v_mul_f16_e32 v66, v54, v49
	v_mul_f16_e32 v54, v54, v24
	v_mul_f16_e32 v69, v57, v52
	v_mul_f16_e32 v57, v57, v30
	v_mul_f16_e32 v70, v43, v58
	v_mul_f16_e32 v58, v22, v58
	v_mul_f16_e32 v67, v55, v50
	v_mul_f16_e32 v55, v55, v26
	v_mul_f16_e32 v68, v56, v51
	v_mul_f16_e32 v56, v56, v28
	v_mul_f16_e32 v71, v44, v59
	v_mul_f16_e32 v59, v23, v59
	v_mul_f16_e32 v72, v45, v60
	v_mul_f16_e32 v60, v25, v60
	v_mul_f16_e32 v75, v48, v63
	v_mul_f16_e32 v63, v21, v63
	v_mul_f16_e32 v76, v39, v64
	v_mul_f16_e32 v64, v34, v64
	v_mul_f16_e32 v73, v46, v61
	v_mul_f16_e32 v61, v27, v61
	v_mul_f16_e32 v74, v47, v62
	v_mul_f16_e32 v62, v29, v62
	v_fmac_f16_e32 v65, v7, v20
	v_fma_f16 v7, v7, v40, -v53
	v_fmac_f16_e32 v66, v8, v24
	v_fma_f16 v8, v8, v49, -v54
	;; [unrolled: 2-line block ×12, first 2 shown]
	v_add_f16_e32 v20, v65, v70
	v_add_f16_e32 v21, v7, v16
	v_sub_f16_e32 v7, v7, v16
	v_add_f16_e32 v16, v66, v69
	v_add_f16_e32 v23, v8, v15
	v_sub_f16_e32 v8, v8, v15
	v_add_f16_e32 v25, v9, v10
	v_sub_f16_e32 v9, v10, v9
	v_add_f16_e32 v10, v71, v76
	v_add_f16_e32 v27, v11, v18
	v_sub_f16_e32 v11, v11, v18
	v_add_f16_e32 v18, v72, v75
	v_add_f16_e32 v29, v12, v17
	v_sub_f16_e32 v22, v65, v70
	v_sub_f16_e32 v24, v66, v69
	v_add_f16_e32 v15, v67, v68
	v_sub_f16_e32 v26, v68, v67
	v_sub_f16_e32 v12, v12, v17
	v_add_f16_e32 v34, v13, v14
	v_sub_f16_e32 v13, v14, v13
	v_add_f16_e32 v14, v16, v20
	v_add_f16_e32 v40, v23, v21
	v_sub_f16_e32 v28, v71, v76
	v_sub_f16_e32 v30, v72, v75
	v_add_f16_e32 v17, v73, v74
	v_sub_f16_e32 v39, v74, v73
	v_sub_f16_e32 v44, v23, v21
	v_sub_f16_e32 v21, v21, v25
	v_sub_f16_e32 v23, v25, v23
	v_add_f16_e32 v46, v9, v8
	v_sub_f16_e32 v48, v9, v8
	v_sub_f16_e32 v8, v8, v7
	v_add_f16_e32 v49, v18, v10
	v_add_f16_e32 v50, v29, v27
	v_sub_f16_e32 v43, v16, v20
	v_sub_f16_e32 v20, v20, v15
	;; [unrolled: 1-line block ×3, first 2 shown]
	v_add_f16_e32 v45, v26, v24
	v_sub_f16_e32 v47, v26, v24
	v_sub_f16_e32 v24, v24, v22
	v_add_f16_e32 v54, v13, v12
	v_sub_f16_e32 v56, v13, v12
	v_sub_f16_e32 v12, v12, v11
	v_add_f16_e32 v14, v15, v14
	v_add_f16_e32 v15, v25, v40
	v_sub_f16_e32 v9, v7, v9
	v_sub_f16_e32 v51, v18, v10
	;; [unrolled: 1-line block ×7, first 2 shown]
	v_add_f16_e32 v53, v39, v30
	v_sub_f16_e32 v55, v39, v30
	v_sub_f16_e32 v30, v30, v28
	v_add_f16_e32 v7, v46, v7
	v_mul_f16_e32 v21, 0x3a52, v21
	v_mul_f16_e32 v40, 0x2b26, v23
	;; [unrolled: 1-line block ×4, first 2 shown]
	v_add_f16_e32 v17, v17, v49
	v_add_f16_e32 v34, v34, v50
	v_sub_f16_e32 v26, v22, v26
	v_sub_f16_e32 v13, v11, v13
	v_add_f16_e32 v22, v45, v22
	v_mul_f16_e32 v20, 0x3a52, v20
	v_mul_f16_e32 v25, 0x2b26, v16
	;; [unrolled: 1-line block ×4, first 2 shown]
	v_add_f16_e32 v11, v54, v11
	v_mul_f16_e32 v54, 0x3846, v56
	v_mul_f16_e32 v56, 0xbb00, v12
	v_add_f16_e32 v33, v14, v33
	v_add_f16_e32 v41, v15, v41
	v_sub_f16_e32 v39, v28, v39
	v_add_f16_e32 v28, v53, v28
	v_mul_f16_e32 v10, 0x3a52, v10
	v_mul_f16_e32 v27, 0x3a52, v27
	;; [unrolled: 1-line block ×5, first 2 shown]
	v_fmamk_f16 v23, v23, 0x2b26, v21
	v_fma_f16 v40, v44, 0x39e0, -v40
	v_fma_f16 v21, v44, 0xb9e0, -v21
	v_fmamk_f16 v44, v9, 0xb574, v46
	v_fma_f16 v8, v8, 0xbb00, -v46
	v_fma_f16 v9, v9, 0x3574, -v48
	v_add_f16_e32 v19, v17, v19
	v_add_f16_e32 v42, v34, v42
	v_mul_f16_e32 v50, 0x2b26, v29
	v_fmamk_f16 v16, v16, 0x2b26, v20
	v_fma_f16 v25, v43, 0x39e0, -v25
	v_fma_f16 v20, v43, 0xb9e0, -v20
	v_fmamk_f16 v43, v26, 0xb574, v45
	v_fma_f16 v24, v24, 0xbb00, -v45
	v_fma_f16 v26, v26, 0x3574, -v47
	;; [unrolled: 3-line block ×3, first 2 shown]
	v_fmamk_f16 v14, v14, 0xbcab, v33
	v_fmamk_f16 v15, v15, 0xbcab, v41
	;; [unrolled: 1-line block ×4, first 2 shown]
	v_fma_f16 v45, v51, 0x39e0, -v49
	v_fma_f16 v10, v51, 0xb9e0, -v10
	;; [unrolled: 1-line block ×3, first 2 shown]
	v_fmamk_f16 v47, v39, 0xb574, v53
	v_fma_f16 v39, v39, 0x3574, -v55
	v_fmac_f16_e32 v44, 0xb70e, v7
	v_fmac_f16_e32 v8, 0xb70e, v7
	v_fmac_f16_e32 v9, 0xb70e, v7
	v_fmamk_f16 v7, v17, 0xbcab, v19
	v_fmamk_f16 v17, v34, 0xbcab, v42
	v_fma_f16 v46, v52, 0x39e0, -v50
	v_fma_f16 v30, v30, 0xbb00, -v53
	v_fmac_f16_e32 v43, 0xb70e, v22
	v_fmac_f16_e32 v24, 0xb70e, v22
	;; [unrolled: 1-line block ×6, first 2 shown]
	v_pack_b32_f16 v11, v33, v41
	v_pack_b32_f16 v19, v19, v42
	v_add_f16_e32 v16, v16, v14
	v_add_f16_e32 v22, v23, v15
	;; [unrolled: 1-line block ×6, first 2 shown]
	v_fmac_f16_e32 v47, 0xb70e, v28
	v_fmac_f16_e32 v39, 0xb70e, v28
	v_add_f16_e32 v18, v18, v7
	v_add_f16_e32 v20, v29, v17
	;; [unrolled: 1-line block ×5, first 2 shown]
	v_fmac_f16_e32 v30, 0xb70e, v28
	v_add_f16_e32 v28, v46, v17
	ds_store_2addr_b32 v4, v11, v19 offset1:85
	v_add_f16_e32 v4, v44, v16
	v_sub_f16_e32 v11, v22, v43
	v_add_f16_e32 v17, v9, v14
	v_sub_f16_e32 v19, v15, v26
	v_sub_f16_e32 v27, v23, v8
	v_add_f16_e32 v29, v24, v25
	v_add_f16_e32 v8, v8, v23
	v_sub_f16_e32 v23, v25, v24
	v_sub_f16_e32 v9, v14, v9
	v_add_f16_e32 v14, v26, v15
	v_sub_f16_e32 v15, v16, v44
	v_add_f16_e32 v16, v43, v22
	v_add_f16_e32 v22, v48, v18
	v_sub_f16_e32 v24, v20, v47
	v_add_f16_e32 v25, v13, v7
	v_sub_f16_e32 v26, v10, v39
	v_sub_f16_e32 v33, v21, v12
	v_add_f16_e32 v34, v30, v28
	v_add_f16_e32 v12, v12, v21
	v_sub_f16_e32 v21, v28, v30
	v_sub_f16_e32 v7, v7, v13
	v_add_f16_e32 v10, v39, v10
	v_sub_f16_e32 v13, v18, v48
	v_add_f16_e32 v18, v47, v20
	v_pack_b32_f16 v4, v4, v11
	v_pack_b32_f16 v11, v17, v19
	v_pack_b32_f16 v17, v27, v29
	v_pack_b32_f16 v8, v8, v23
	v_pack_b32_f16 v9, v9, v14
	v_pack_b32_f16 v14, v15, v16
	v_pack_b32_f16 v15, v22, v24
	v_pack_b32_f16 v16, v25, v26
	v_pack_b32_f16 v19, v33, v34
	v_pack_b32_f16 v12, v12, v21
	v_pack_b32_f16 v7, v7, v10
	v_pack_b32_f16 v10, v13, v18
	ds_store_2addr_b32 v31, v4, v11 offset0:42 offset1:212
	ds_store_2addr_b32 v36, v17, v8 offset0:62 offset1:232
	;; [unrolled: 1-line block ×6, first 2 shown]
	global_wb scope:SCOPE_SE
	s_wait_dscnt 0x0
	s_barrier_signal -1
	s_barrier_wait -1
	global_inv scope:SCOPE_SE
	s_and_saveexec_b32 s0, vcc_lo
	s_cbranch_execz .LBB0_26
; %bb.25:
	v_mul_lo_u32 v7, s3, v5
	v_mul_lo_u32 v8, s2, v6
	v_mad_co_u64_u32 v[5:6], null, s2, v5, 0
	v_mov_b32_e32 v4, 0
	v_lshl_add_u32 v29, v3, 2, v0
	v_lshlrev_b64_e32 v[0:1], 2, v[1:2]
	v_add_nc_u32_e32 v21, 0x1fe, v3
	v_add_nc_u32_e32 v23, 0x253, v3
	;; [unrolled: 1-line block ×3, first 2 shown]
	v_add3_u32 v6, v6, v8, v7
	v_add_nc_u32_e32 v7, 0x55, v3
	v_dual_mov_b32 v8, v4 :: v_dual_add_nc_u32 v9, 0xaa, v3
	v_lshlrev_b64_e32 v[15:16], 2, v[3:4]
	s_delay_alu instid0(VALU_DEP_4)
	v_lshlrev_b64_e32 v[5:6], 2, v[5:6]
	v_dual_mov_b32 v10, v4 :: v_dual_add_nc_u32 v11, 0xff, v3
	ds_load_2addr_b32 v[13:14], v29 offset1:85
	v_mov_b32_e32 v20, v4
	v_mov_b32_e32 v22, v4
	v_add_co_u32 v2, vcc_lo, s6, v5
	s_wait_alu 0xfffd
	v_add_co_ci_u32_e32 v12, vcc_lo, s7, v6, vcc_lo
	v_lshlrev_b64_e32 v[5:6], 2, v[7:8]
	s_delay_alu instid0(VALU_DEP_3) | instskip(SKIP_1) | instid1(VALU_DEP_3)
	v_add_co_u32 v30, vcc_lo, v2, v0
	s_wait_alu 0xfffd
	v_add_co_ci_u32_e32 v31, vcc_lo, v12, v1, vcc_lo
	v_mov_b32_e32 v12, v4
	s_delay_alu instid0(VALU_DEP_3)
	v_add_co_u32 v7, vcc_lo, v30, v15
	v_add_nc_u32_e32 v15, 0x154, v3
	v_add_nc_u32_e32 v2, 0x400, v29
	v_lshlrev_b64_e32 v[0:1], 2, v[9:10]
	s_wait_alu 0xfffd
	v_add_co_ci_u32_e32 v8, vcc_lo, v31, v16, vcc_lo
	v_dual_mov_b32 v16, v4 :: v_dual_add_nc_u32 v19, 0x1a9, v3
	v_add_co_u32 v5, vcc_lo, v30, v5
	v_lshlrev_b64_e32 v[11:12], 2, v[11:12]
	ds_load_2addr_b32 v[17:18], v2 offset0:84 offset1:169
	v_add_nc_u32_e32 v2, 0x600, v29
	s_wait_alu 0xfffd
	v_add_co_ci_u32_e32 v6, vcc_lo, v31, v6, vcc_lo
	ds_load_2addr_b32 v[9:10], v29 offset0:170 offset1:255
	v_add_co_u32 v0, vcc_lo, v30, v0
	v_lshlrev_b64_e32 v[15:16], 2, v[15:16]
	s_wait_alu 0xfffd
	v_add_co_ci_u32_e32 v1, vcc_lo, v31, v1, vcc_lo
	v_add_co_u32 v11, vcc_lo, v30, v11
	v_lshlrev_b64_e32 v[19:20], 2, v[19:20]
	ds_load_2addr_b32 v[25:26], v2 offset0:126 offset1:211
	v_mov_b32_e32 v24, v4
	s_wait_alu 0xfffd
	v_add_co_ci_u32_e32 v12, vcc_lo, v31, v12, vcc_lo
	v_add_co_u32 v15, vcc_lo, v30, v15
	v_lshlrev_b64_e32 v[21:22], 2, v[21:22]
	s_wait_alu 0xfffd
	v_add_co_ci_u32_e32 v16, vcc_lo, v31, v16, vcc_lo
	v_add_co_u32 v19, vcc_lo, v30, v19
	v_lshlrev_b64_e32 v[23:24], 2, v[23:24]
	s_wait_alu 0xfffd
	v_add_co_ci_u32_e32 v20, vcc_lo, v31, v20, vcc_lo
	v_add_co_u32 v21, vcc_lo, v30, v21
	v_add_nc_u32_e32 v2, 0x800, v29
	s_wait_alu 0xfffd
	v_add_co_ci_u32_e32 v22, vcc_lo, v31, v22, vcc_lo
	v_add_co_u32 v23, vcc_lo, v30, v23
	v_mov_b32_e32 v28, v4
	s_wait_alu 0xfffd
	v_add_co_ci_u32_e32 v24, vcc_lo, v31, v24, vcc_lo
	s_wait_dscnt 0x3
	s_clause 0x1
	global_store_b32 v[7:8], v13, off
	global_store_b32 v[5:6], v14, off
	s_wait_dscnt 0x1
	s_clause 0x3
	global_store_b32 v[0:1], v9, off
	global_store_b32 v[11:12], v10, off
	;; [unrolled: 1-line block ×4, first 2 shown]
	s_wait_dscnt 0x0
	s_clause 0x1
	global_store_b32 v[21:22], v25, off
	global_store_b32 v[23:24], v26, off
	v_add_nc_u32_e32 v5, 0x2fd, v3
	ds_load_2addr_b32 v[0:1], v2 offset0:168 offset1:253
	v_add_nc_u32_e32 v2, 0xc00, v29
	v_dual_mov_b32 v6, v4 :: v_dual_add_nc_u32 v9, 0x352, v3
	v_lshlrev_b64_e32 v[27:28], 2, v[27:28]
	v_dual_mov_b32 v10, v4 :: v_dual_add_nc_u32 v11, 0x3a7, v3
	ds_load_2addr_b32 v[13:14], v2 offset0:82 offset1:167
	v_add_nc_u32_e32 v2, 0xe00, v29
	v_lshlrev_b64_e32 v[5:6], 2, v[5:6]
	v_dual_mov_b32 v12, v4 :: v_dual_add_nc_u32 v15, 0x3fc, v3
	v_add_co_u32 v7, vcc_lo, v30, v27
	v_lshlrev_b64_e32 v[9:10], 2, v[9:10]
	v_dual_mov_b32 v16, v4 :: v_dual_add_nc_u32 v3, 0x451, v3
	ds_load_2addr_b32 v[17:18], v2 offset0:124 offset1:209
	s_wait_alu 0xfffd
	v_add_co_ci_u32_e32 v8, vcc_lo, v31, v28, vcc_lo
	v_add_co_u32 v5, vcc_lo, v30, v5
	v_lshlrev_b64_e32 v[11:12], 2, v[11:12]
	s_wait_alu 0xfffd
	v_add_co_ci_u32_e32 v6, vcc_lo, v31, v6, vcc_lo
	v_add_co_u32 v9, vcc_lo, v30, v9
	v_lshlrev_b64_e32 v[15:16], 2, v[15:16]
	;; [unrolled: 4-line block ×3, first 2 shown]
	s_wait_alu 0xfffd
	v_add_co_ci_u32_e32 v12, vcc_lo, v31, v12, vcc_lo
	v_add_co_u32 v15, vcc_lo, v30, v15
	s_wait_alu 0xfffd
	v_add_co_ci_u32_e32 v16, vcc_lo, v31, v16, vcc_lo
	v_add_co_u32 v2, vcc_lo, v30, v2
	s_wait_alu 0xfffd
	v_add_co_ci_u32_e32 v3, vcc_lo, v31, v3, vcc_lo
	s_wait_dscnt 0x2
	s_clause 0x1
	global_store_b32 v[7:8], v0, off
	global_store_b32 v[5:6], v1, off
	s_wait_dscnt 0x1
	s_clause 0x1
	global_store_b32 v[9:10], v13, off
	global_store_b32 v[11:12], v14, off
	;; [unrolled: 4-line block ×3, first 2 shown]
.LBB0_26:
	s_nop 0
	s_sendmsg sendmsg(MSG_DEALLOC_VGPRS)
	s_endpgm
	.section	.rodata,"a",@progbits
	.p2align	6, 0x0
	.amdhsa_kernel fft_rtc_back_len1190_factors_17_2_5_7_wgs_255_tpt_85_halfLds_half_op_CI_CI_unitstride_sbrr_C2R_dirReg
		.amdhsa_group_segment_fixed_size 0
		.amdhsa_private_segment_fixed_size 0
		.amdhsa_kernarg_size 104
		.amdhsa_user_sgpr_count 2
		.amdhsa_user_sgpr_dispatch_ptr 0
		.amdhsa_user_sgpr_queue_ptr 0
		.amdhsa_user_sgpr_kernarg_segment_ptr 1
		.amdhsa_user_sgpr_dispatch_id 0
		.amdhsa_user_sgpr_private_segment_size 0
		.amdhsa_wavefront_size32 1
		.amdhsa_uses_dynamic_stack 0
		.amdhsa_enable_private_segment 0
		.amdhsa_system_sgpr_workgroup_id_x 1
		.amdhsa_system_sgpr_workgroup_id_y 0
		.amdhsa_system_sgpr_workgroup_id_z 0
		.amdhsa_system_sgpr_workgroup_info 0
		.amdhsa_system_vgpr_workitem_id 0
		.amdhsa_next_free_vgpr 152
		.amdhsa_next_free_sgpr 39
		.amdhsa_reserve_vcc 1
		.amdhsa_float_round_mode_32 0
		.amdhsa_float_round_mode_16_64 0
		.amdhsa_float_denorm_mode_32 3
		.amdhsa_float_denorm_mode_16_64 3
		.amdhsa_fp16_overflow 0
		.amdhsa_workgroup_processor_mode 1
		.amdhsa_memory_ordered 1
		.amdhsa_forward_progress 0
		.amdhsa_round_robin_scheduling 0
		.amdhsa_exception_fp_ieee_invalid_op 0
		.amdhsa_exception_fp_denorm_src 0
		.amdhsa_exception_fp_ieee_div_zero 0
		.amdhsa_exception_fp_ieee_overflow 0
		.amdhsa_exception_fp_ieee_underflow 0
		.amdhsa_exception_fp_ieee_inexact 0
		.amdhsa_exception_int_div_zero 0
	.end_amdhsa_kernel
	.text
.Lfunc_end0:
	.size	fft_rtc_back_len1190_factors_17_2_5_7_wgs_255_tpt_85_halfLds_half_op_CI_CI_unitstride_sbrr_C2R_dirReg, .Lfunc_end0-fft_rtc_back_len1190_factors_17_2_5_7_wgs_255_tpt_85_halfLds_half_op_CI_CI_unitstride_sbrr_C2R_dirReg
                                        ; -- End function
	.section	.AMDGPU.csdata,"",@progbits
; Kernel info:
; codeLenInByte = 14952
; NumSgprs: 41
; NumVgprs: 152
; ScratchSize: 0
; MemoryBound: 0
; FloatMode: 240
; IeeeMode: 1
; LDSByteSize: 0 bytes/workgroup (compile time only)
; SGPRBlocks: 5
; VGPRBlocks: 18
; NumSGPRsForWavesPerEU: 41
; NumVGPRsForWavesPerEU: 152
; Occupancy: 9
; WaveLimiterHint : 1
; COMPUTE_PGM_RSRC2:SCRATCH_EN: 0
; COMPUTE_PGM_RSRC2:USER_SGPR: 2
; COMPUTE_PGM_RSRC2:TRAP_HANDLER: 0
; COMPUTE_PGM_RSRC2:TGID_X_EN: 1
; COMPUTE_PGM_RSRC2:TGID_Y_EN: 0
; COMPUTE_PGM_RSRC2:TGID_Z_EN: 0
; COMPUTE_PGM_RSRC2:TIDIG_COMP_CNT: 0
	.text
	.p2alignl 7, 3214868480
	.fill 96, 4, 3214868480
	.type	__hip_cuid_385f398c3b8ba7e3,@object ; @__hip_cuid_385f398c3b8ba7e3
	.section	.bss,"aw",@nobits
	.globl	__hip_cuid_385f398c3b8ba7e3
__hip_cuid_385f398c3b8ba7e3:
	.byte	0                               ; 0x0
	.size	__hip_cuid_385f398c3b8ba7e3, 1

	.ident	"AMD clang version 19.0.0git (https://github.com/RadeonOpenCompute/llvm-project roc-6.4.0 25133 c7fe45cf4b819c5991fe208aaa96edf142730f1d)"
	.section	".note.GNU-stack","",@progbits
	.addrsig
	.addrsig_sym __hip_cuid_385f398c3b8ba7e3
	.amdgpu_metadata
---
amdhsa.kernels:
  - .args:
      - .actual_access:  read_only
        .address_space:  global
        .offset:         0
        .size:           8
        .value_kind:     global_buffer
      - .offset:         8
        .size:           8
        .value_kind:     by_value
      - .actual_access:  read_only
        .address_space:  global
        .offset:         16
        .size:           8
        .value_kind:     global_buffer
      - .actual_access:  read_only
        .address_space:  global
        .offset:         24
        .size:           8
        .value_kind:     global_buffer
      - .actual_access:  read_only
        .address_space:  global
        .offset:         32
        .size:           8
        .value_kind:     global_buffer
      - .offset:         40
        .size:           8
        .value_kind:     by_value
      - .actual_access:  read_only
        .address_space:  global
        .offset:         48
        .size:           8
        .value_kind:     global_buffer
      - .actual_access:  read_only
        .address_space:  global
        .offset:         56
        .size:           8
        .value_kind:     global_buffer
      - .offset:         64
        .size:           4
        .value_kind:     by_value
      - .actual_access:  read_only
        .address_space:  global
        .offset:         72
        .size:           8
        .value_kind:     global_buffer
      - .actual_access:  read_only
        .address_space:  global
        .offset:         80
        .size:           8
        .value_kind:     global_buffer
      - .actual_access:  read_only
        .address_space:  global
        .offset:         88
        .size:           8
        .value_kind:     global_buffer
      - .actual_access:  write_only
        .address_space:  global
        .offset:         96
        .size:           8
        .value_kind:     global_buffer
    .group_segment_fixed_size: 0
    .kernarg_segment_align: 8
    .kernarg_segment_size: 104
    .language:       OpenCL C
    .language_version:
      - 2
      - 0
    .max_flat_workgroup_size: 255
    .name:           fft_rtc_back_len1190_factors_17_2_5_7_wgs_255_tpt_85_halfLds_half_op_CI_CI_unitstride_sbrr_C2R_dirReg
    .private_segment_fixed_size: 0
    .sgpr_count:     41
    .sgpr_spill_count: 0
    .symbol:         fft_rtc_back_len1190_factors_17_2_5_7_wgs_255_tpt_85_halfLds_half_op_CI_CI_unitstride_sbrr_C2R_dirReg.kd
    .uniform_work_group_size: 1
    .uses_dynamic_stack: false
    .vgpr_count:     152
    .vgpr_spill_count: 0
    .wavefront_size: 32
    .workgroup_processor_mode: 1
amdhsa.target:   amdgcn-amd-amdhsa--gfx1201
amdhsa.version:
  - 1
  - 2
...

	.end_amdgpu_metadata
